;; amdgpu-corpus repo=vllm-project/vllm kind=compiled arch=gfx90a opt=O3
	.text
	.amdgcn_target "amdgcn-amd-amdhsa--gfx90a"
	.amdhsa_code_object_version 6
	.section	.text._Z23fp32_router_gemm_kernelIfLi128ELi1ELi256ELi3072EEvPfPKT_PKf,"axG",@progbits,_Z23fp32_router_gemm_kernelIfLi128ELi1ELi256ELi3072EEvPfPKT_PKf,comdat
	.protected	_Z23fp32_router_gemm_kernelIfLi128ELi1ELi256ELi3072EEvPfPKT_PKf ; -- Begin function _Z23fp32_router_gemm_kernelIfLi128ELi1ELi256ELi3072EEvPfPKT_PKf
	.globl	_Z23fp32_router_gemm_kernelIfLi128ELi1ELi256ELi3072EEvPfPKT_PKf
	.p2align	8
	.type	_Z23fp32_router_gemm_kernelIfLi128ELi1ELi256ELi3072EEvPfPKT_PKf,@function
_Z23fp32_router_gemm_kernelIfLi128ELi1ELi256ELi3072EEvPfPKT_PKf: ; @_Z23fp32_router_gemm_kernelIfLi128ELi1ELi256ELi3072EEvPfPKT_PKf
; %bb.0:
	s_load_dwordx2 s[8:9], s[4:5], 0x10
	s_load_dwordx4 s[0:3], s[4:5], 0x0
	s_mul_i32 s4, s6, 0xc00
	s_ashr_i32 s5, s4, 31
	s_lshl_b64 s[4:5], s[4:5], 2
	s_waitcnt lgkmcnt(0)
	s_add_u32 s4, s8, s4
	s_addc_u32 s5, s9, s5
	v_lshlrev_b32_e32 v1, 4, v0
	v_mov_b32_e32 v2, s5
	v_add_co_u32_e32 v18, vcc, s4, v1
	v_addc_co_u32_e32 v19, vcc, 0, v2, vcc
	v_mov_b32_e32 v2, s3
	v_add_co_u32_e32 v26, vcc, s2, v1
	v_addc_co_u32_e32 v27, vcc, 0, v2, vcc
	global_load_dwordx4 v[2:5], v1, s[4:5]
	global_load_dwordx4 v[6:9], v1, s[4:5] offset:2048
	global_load_dwordx4 v[10:13], v1, s[2:3]
	global_load_dwordx4 v[14:17], v1, s[2:3] offset:2048
	s_movk_i32 s2, 0x1000
	v_add_co_u32_e32 v50, vcc, s2, v18
	v_addc_co_u32_e32 v51, vcc, 0, v19, vcc
	s_movk_i32 s3, 0x2000
	v_add_co_u32_e32 v52, vcc, s3, v18
	v_addc_co_u32_e32 v53, vcc, 0, v19, vcc
	v_add_co_u32_e32 v54, vcc, s3, v26
	v_addc_co_u32_e32 v55, vcc, 0, v27, vcc
	global_load_dwordx4 v[18:21], v[52:53], off offset:-4096
	global_load_dwordx4 v[22:25], v[54:55], off offset:-4096
	v_add_co_u32_e32 v56, vcc, s2, v26
	v_addc_co_u32_e32 v57, vcc, 0, v27, vcc
	global_load_dwordx4 v[26:29], v[50:51], off offset:2048
	global_load_dwordx4 v[30:33], v[56:57], off offset:2048
	global_load_dwordx4 v[34:37], v[52:53], off
	global_load_dwordx4 v[38:41], v[54:55], off
	global_load_dwordx4 v[42:45], v[54:55], off offset:2048
	global_load_dwordx4 v[46:49], v[52:53], off offset:2048
	v_mbcnt_lo_u32_b32 v1, -1, 0
	v_mbcnt_hi_u32_b32 v1, -1, v1
	v_and_b32_e32 v51, 64, v1
	v_xor_b32_e32 v50, 16, v1
	v_add_u32_e32 v51, 64, v51
	v_cmp_lt_i32_e32 vcc, v50, v51
	v_cndmask_b32_e32 v50, v1, v50, vcc
	v_lshlrev_b32_e32 v50, 2, v50
	s_waitcnt vmcnt(9)
	v_mul_f32_e32 v2, v10, v2
	v_mul_f32_e32 v3, v11, v3
	v_add_f32_e32 v2, 0, v2
	v_mul_f32_e32 v4, v12, v4
	v_add_f32_e32 v2, v2, v3
	;; [unrolled: 2-line block ×3, first 2 shown]
	s_waitcnt vmcnt(8)
	v_mul_f32_e32 v6, v14, v6
	v_add_f32_e32 v2, v2, v5
	v_mul_f32_e32 v7, v15, v7
	v_add_f32_e32 v2, v2, v6
	v_mul_f32_e32 v8, v16, v8
	v_add_f32_e32 v2, v2, v7
	v_mul_f32_e32 v9, v17, v9
	v_add_f32_e32 v2, v2, v8
	v_add_f32_e32 v2, v2, v9
	s_waitcnt vmcnt(6)
	v_mul_f32_e32 v3, v22, v18
	v_mul_f32_e32 v4, v23, v19
	v_add_f32_e32 v2, v2, v3
	v_mul_f32_e32 v10, v24, v20
	v_add_f32_e32 v2, v2, v4
	v_mul_f32_e32 v11, v25, v21
	v_add_f32_e32 v2, v2, v10
	s_waitcnt vmcnt(4)
	v_mul_f32_e32 v12, v30, v26
	v_add_f32_e32 v2, v2, v11
	v_mul_f32_e32 v13, v31, v27
	v_add_f32_e32 v2, v2, v12
	v_mul_f32_e32 v14, v32, v28
	v_add_f32_e32 v2, v2, v13
	v_mul_f32_e32 v15, v33, v29
	v_add_f32_e32 v2, v2, v14
	s_waitcnt vmcnt(2)
	v_mul_f32_e32 v16, v38, v34
	v_add_f32_e32 v2, v2, v15
	v_mul_f32_e32 v17, v39, v35
	v_add_f32_e32 v2, v2, v16
	v_mul_f32_e32 v18, v40, v36
	v_add_f32_e32 v2, v2, v17
	v_mul_f32_e32 v19, v41, v37
	v_add_f32_e32 v2, v2, v18
	s_waitcnt vmcnt(0)
	v_mul_f32_e32 v20, v42, v46
	v_add_f32_e32 v2, v2, v19
	v_mul_f32_e32 v21, v43, v47
	v_add_f32_e32 v2, v2, v20
	v_mul_f32_e32 v22, v44, v48
	v_add_f32_e32 v2, v2, v21
	;; [unrolled: 2-line block ×3, first 2 shown]
	v_add_f32_e32 v2, v2, v23
	ds_bpermute_b32 v3, v50, v2
	v_xor_b32_e32 v4, 8, v1
	v_cmp_lt_i32_e32 vcc, v4, v51
	v_cndmask_b32_e32 v4, v1, v4, vcc
	v_lshlrev_b32_e32 v4, 2, v4
	s_waitcnt lgkmcnt(0)
	v_add_f32_e32 v2, v2, v3
	ds_bpermute_b32 v3, v4, v2
	v_xor_b32_e32 v4, 4, v1
	v_cmp_lt_i32_e32 vcc, v4, v51
	v_cndmask_b32_e32 v4, v1, v4, vcc
	v_lshlrev_b32_e32 v4, 2, v4
	s_waitcnt lgkmcnt(0)
	;; [unrolled: 7-line block ×3, first 2 shown]
	v_add_f32_e32 v2, v2, v3
	ds_bpermute_b32 v3, v4, v2
	v_xor_b32_e32 v4, 1, v1
	v_cmp_lt_i32_e32 vcc, v4, v51
	v_cndmask_b32_e32 v4, v1, v4, vcc
	s_waitcnt lgkmcnt(0)
	v_add_f32_e32 v1, v2, v3
	v_lshlrev_b32_e32 v2, 2, v4
	ds_bpermute_b32 v2, v2, v1
	v_and_b32_e32 v3, 31, v0
	v_cmp_eq_u32_e32 vcc, 0, v3
	s_and_saveexec_b64 s[2:3], vcc
	s_cbranch_execz .LBB0_2
; %bb.1:
	v_lshrrev_b32_e32 v3, 3, v0
	s_waitcnt lgkmcnt(0)
	v_add_f32_e32 v1, v1, v2
	ds_write_b32 v3, v1
.LBB0_2:
	s_or_b64 exec, exec, s[2:3]
	v_cmp_eq_u32_e32 vcc, 0, v0
	s_waitcnt lgkmcnt(0)
	s_barrier
	s_and_saveexec_b64 s[2:3], vcc
	s_cbranch_execz .LBB0_4
; %bb.3:
	v_mov_b32_e32 v4, 0
	ds_read_b128 v[0:3], v4
	s_ashr_i32 s7, s6, 31
	s_lshl_b64 s[2:3], s[6:7], 2
	s_add_u32 s0, s0, s2
	s_addc_u32 s1, s1, s3
	s_waitcnt lgkmcnt(0)
	v_add_f32_e32 v0, 0, v0
	v_add_f32_e32 v0, v0, v1
	;; [unrolled: 1-line block ×4, first 2 shown]
	global_store_dword v4, v0, s[0:1]
.LBB0_4:
	s_endpgm
	.section	.rodata,"a",@progbits
	.p2align	6, 0x0
	.amdhsa_kernel _Z23fp32_router_gemm_kernelIfLi128ELi1ELi256ELi3072EEvPfPKT_PKf
		.amdhsa_group_segment_fixed_size 16
		.amdhsa_private_segment_fixed_size 0
		.amdhsa_kernarg_size 24
		.amdhsa_user_sgpr_count 6
		.amdhsa_user_sgpr_private_segment_buffer 1
		.amdhsa_user_sgpr_dispatch_ptr 0
		.amdhsa_user_sgpr_queue_ptr 0
		.amdhsa_user_sgpr_kernarg_segment_ptr 1
		.amdhsa_user_sgpr_dispatch_id 0
		.amdhsa_user_sgpr_flat_scratch_init 0
		.amdhsa_user_sgpr_kernarg_preload_length 0
		.amdhsa_user_sgpr_kernarg_preload_offset 0
		.amdhsa_user_sgpr_private_segment_size 0
		.amdhsa_uses_dynamic_stack 0
		.amdhsa_system_sgpr_private_segment_wavefront_offset 0
		.amdhsa_system_sgpr_workgroup_id_x 1
		.amdhsa_system_sgpr_workgroup_id_y 0
		.amdhsa_system_sgpr_workgroup_id_z 0
		.amdhsa_system_sgpr_workgroup_info 0
		.amdhsa_system_vgpr_workitem_id 0
		.amdhsa_next_free_vgpr 58
		.amdhsa_next_free_sgpr 10
		.amdhsa_accum_offset 60
		.amdhsa_reserve_vcc 1
		.amdhsa_reserve_flat_scratch 0
		.amdhsa_float_round_mode_32 0
		.amdhsa_float_round_mode_16_64 0
		.amdhsa_float_denorm_mode_32 3
		.amdhsa_float_denorm_mode_16_64 3
		.amdhsa_dx10_clamp 1
		.amdhsa_ieee_mode 1
		.amdhsa_fp16_overflow 0
		.amdhsa_tg_split 0
		.amdhsa_exception_fp_ieee_invalid_op 0
		.amdhsa_exception_fp_denorm_src 0
		.amdhsa_exception_fp_ieee_div_zero 0
		.amdhsa_exception_fp_ieee_overflow 0
		.amdhsa_exception_fp_ieee_underflow 0
		.amdhsa_exception_fp_ieee_inexact 0
		.amdhsa_exception_int_div_zero 0
	.end_amdhsa_kernel
	.section	.text._Z23fp32_router_gemm_kernelIfLi128ELi1ELi256ELi3072EEvPfPKT_PKf,"axG",@progbits,_Z23fp32_router_gemm_kernelIfLi128ELi1ELi256ELi3072EEvPfPKT_PKf,comdat
.Lfunc_end0:
	.size	_Z23fp32_router_gemm_kernelIfLi128ELi1ELi256ELi3072EEvPfPKT_PKf, .Lfunc_end0-_Z23fp32_router_gemm_kernelIfLi128ELi1ELi256ELi3072EEvPfPKT_PKf
                                        ; -- End function
	.section	.AMDGPU.csdata,"",@progbits
; Kernel info:
; codeLenInByte = 720
; NumSgprs: 14
; NumVgprs: 58
; NumAgprs: 0
; TotalNumVgprs: 58
; ScratchSize: 0
; MemoryBound: 0
; FloatMode: 240
; IeeeMode: 1
; LDSByteSize: 16 bytes/workgroup (compile time only)
; SGPRBlocks: 1
; VGPRBlocks: 7
; NumSGPRsForWavesPerEU: 14
; NumVGPRsForWavesPerEU: 58
; AccumOffset: 60
; Occupancy: 8
; WaveLimiterHint : 0
; COMPUTE_PGM_RSRC2:SCRATCH_EN: 0
; COMPUTE_PGM_RSRC2:USER_SGPR: 6
; COMPUTE_PGM_RSRC2:TRAP_HANDLER: 0
; COMPUTE_PGM_RSRC2:TGID_X_EN: 1
; COMPUTE_PGM_RSRC2:TGID_Y_EN: 0
; COMPUTE_PGM_RSRC2:TGID_Z_EN: 0
; COMPUTE_PGM_RSRC2:TIDIG_COMP_CNT: 0
; COMPUTE_PGM_RSRC3_GFX90A:ACCUM_OFFSET: 14
; COMPUTE_PGM_RSRC3_GFX90A:TG_SPLIT: 0
	.section	.text._Z23fp32_router_gemm_kernelIfLi128ELi2ELi256ELi3072EEvPfPKT_PKf,"axG",@progbits,_Z23fp32_router_gemm_kernelIfLi128ELi2ELi256ELi3072EEvPfPKT_PKf,comdat
	.protected	_Z23fp32_router_gemm_kernelIfLi128ELi2ELi256ELi3072EEvPfPKT_PKf ; -- Begin function _Z23fp32_router_gemm_kernelIfLi128ELi2ELi256ELi3072EEvPfPKT_PKf
	.globl	_Z23fp32_router_gemm_kernelIfLi128ELi2ELi256ELi3072EEvPfPKT_PKf
	.p2align	8
	.type	_Z23fp32_router_gemm_kernelIfLi128ELi2ELi256ELi3072EEvPfPKT_PKf,@function
_Z23fp32_router_gemm_kernelIfLi128ELi2ELi256ELi3072EEvPfPKT_PKf: ; @_Z23fp32_router_gemm_kernelIfLi128ELi2ELi256ELi3072EEvPfPKT_PKf
; %bb.0:
	s_load_dwordx2 s[8:9], s[4:5], 0x10
	s_load_dwordx4 s[0:3], s[4:5], 0x0
	s_mul_i32 s4, s6, 0xc00
	s_ashr_i32 s5, s4, 31
	s_lshl_b64 s[4:5], s[4:5], 2
	s_waitcnt lgkmcnt(0)
	s_add_u32 s4, s8, s4
	s_addc_u32 s5, s9, s5
	v_lshlrev_b32_e32 v1, 4, v0
	v_mov_b32_e32 v2, s5
	v_add_co_u32_e32 v10, vcc, s4, v1
	v_addc_co_u32_e32 v11, vcc, 0, v2, vcc
	v_mov_b32_e32 v2, s3
	v_add_co_u32_e32 v42, vcc, s2, v1
	v_addc_co_u32_e32 v43, vcc, 0, v2, vcc
	global_load_dwordx4 v[2:5], v1, s[4:5]
	global_load_dwordx4 v[6:9], v1, s[4:5] offset:2048
	global_load_dwordx4 v[26:29], v1, s[2:3]
	global_load_dwordx4 v[30:33], v1, s[2:3] offset:2048
	s_movk_i32 s2, 0x1000
	v_add_co_u32_e32 v22, vcc, s2, v10
	v_addc_co_u32_e32 v23, vcc, 0, v11, vcc
	s_movk_i32 s3, 0x2000
	v_add_co_u32_e32 v38, vcc, s3, v10
	v_addc_co_u32_e32 v39, vcc, 0, v11, vcc
	v_add_co_u32_e32 v40, vcc, s3, v42
	v_addc_co_u32_e32 v41, vcc, 0, v43, vcc
	global_load_dwordx4 v[10:13], v[38:39], off offset:-4096
	global_load_dwordx4 v[34:37], v[40:41], off offset:-4096
	v_add_co_u32_e32 v24, vcc, s2, v42
	v_addc_co_u32_e32 v25, vcc, 0, v43, vcc
	global_load_dwordx4 v[46:49], v[24:25], off offset:2048
	global_load_dwordx4 v[14:17], v[22:23], off offset:2048
	global_load_dwordx4 v[50:53], v[40:41], off
	global_load_dwordx4 v[18:21], v[38:39], off
	global_load_dwordx4 v[54:57], v[40:41], off offset:2048
	s_nop 0
	global_load_dwordx4 v[22:25], v[38:39], off offset:2048
	s_movk_i32 s2, 0x3000
	v_add_co_u32_e32 v38, vcc, s2, v42
	s_movk_i32 s3, 0x4000
	v_addc_co_u32_e32 v39, vcc, 0, v43, vcc
	v_add_co_u32_e32 v58, vcc, s3, v42
	s_movk_i32 s4, 0x5000
	v_addc_co_u32_e32 v59, vcc, 0, v43, vcc
	v_add_co_u32_e32 v60, vcc, s4, v42
	v_addc_co_u32_e32 v61, vcc, 0, v43, vcc
	global_load_dwordx4 v[38:41], v[38:39], off offset:2048
	v_mbcnt_lo_u32_b32 v1, -1, 0
	s_waitcnt vmcnt(10)
	v_fma_f32 v62, v26, v2, 0
	v_fmac_f32_e32 v62, v27, v3
	v_fmac_f32_e32 v62, v28, v4
	v_fmac_f32_e32 v62, v29, v5
	s_waitcnt vmcnt(9)
	v_fmac_f32_e32 v62, v30, v6
	v_fmac_f32_e32 v62, v31, v7
	v_fmac_f32_e32 v62, v32, v8
	v_fmac_f32_e32 v62, v33, v9
	global_load_dwordx4 v[42:45], v[58:59], off
	global_load_dwordx4 v[30:33], v[58:59], off offset:2048
	global_load_dwordx4 v[26:29], v[60:61], off
	s_waitcnt vmcnt(10)
	v_fmac_f32_e32 v62, v34, v10
	v_fmac_f32_e32 v62, v35, v11
	;; [unrolled: 1-line block ×4, first 2 shown]
	s_waitcnt vmcnt(8)
	v_fmac_f32_e32 v62, v46, v14
	v_fmac_f32_e32 v62, v47, v15
	;; [unrolled: 1-line block ×4, first 2 shown]
	global_load_dwordx4 v[46:49], v[58:59], off offset:-4096
	global_load_dwordx4 v[34:37], v[60:61], off offset:2048
	s_waitcnt vmcnt(8)
	v_fmac_f32_e32 v62, v50, v18
	v_fmac_f32_e32 v62, v51, v19
	v_mbcnt_hi_u32_b32 v58, -1, v1
	v_fmac_f32_e32 v62, v52, v20
	v_fmac_f32_e32 v62, v53, v21
	v_and_b32_e32 v50, 64, v58
	v_xor_b32_e32 v1, 16, v58
	v_add_u32_e32 v53, 64, v50
	s_waitcnt vmcnt(6)
	v_fmac_f32_e32 v62, v54, v22
	v_cmp_lt_i32_e32 vcc, v1, v53
	v_fmac_f32_e32 v62, v55, v23
	v_cndmask_b32_e32 v1, v58, v1, vcc
	v_fmac_f32_e32 v62, v56, v24
	v_fmac_f32_e32 v62, v57, v25
	v_lshlrev_b32_e32 v1, 2, v1
	ds_bpermute_b32 v51, v1, v62
	v_xor_b32_e32 v50, 8, v58
	v_cmp_lt_i32_e32 vcc, v50, v53
	v_cndmask_b32_e32 v50, v58, v50, vcc
	v_lshlrev_b32_e32 v50, 2, v50
	s_waitcnt lgkmcnt(0)
	v_add_f32_e32 v52, v62, v51
	ds_bpermute_b32 v54, v50, v52
	v_xor_b32_e32 v51, 4, v58
	v_cmp_lt_i32_e32 vcc, v51, v53
	v_cndmask_b32_e32 v51, v58, v51, vcc
	v_lshlrev_b32_e32 v51, 2, v51
	s_waitcnt lgkmcnt(0)
	v_add_f32_e32 v54, v52, v54
	;; [unrolled: 7-line block ×4, first 2 shown]
	ds_bpermute_b32 v56, v54, v55
	v_lshrrev_b32_e32 v53, 5, v0
	v_and_b32_e32 v57, 31, v0
	v_cmp_eq_u32_e32 vcc, 0, v57
	v_lshlrev_b32_e32 v53, 2, v53
	s_and_saveexec_b64 s[2:3], vcc
	s_cbranch_execz .LBB1_2
; %bb.1:
	s_waitcnt lgkmcnt(0)
	v_add_f32_e32 v55, v55, v56
	ds_write_b32 v53, v55
.LBB1_2:
	s_or_b64 exec, exec, s[2:3]
	s_waitcnt vmcnt(1)
	v_fma_f32 v2, v46, v2, 0
	v_fmac_f32_e32 v2, v47, v3
	v_fmac_f32_e32 v2, v48, v4
	;; [unrolled: 1-line block ×19, first 2 shown]
	s_waitcnt vmcnt(0)
	v_fmac_f32_e32 v2, v34, v22
	v_fmac_f32_e32 v2, v35, v23
	;; [unrolled: 1-line block ×4, first 2 shown]
	ds_bpermute_b32 v1, v1, v2
	s_waitcnt lgkmcnt(0)
	v_add_f32_e32 v1, v2, v1
	ds_bpermute_b32 v2, v50, v1
	s_waitcnt lgkmcnt(0)
	v_add_f32_e32 v1, v1, v2
	;; [unrolled: 3-line block ×4, first 2 shown]
	ds_bpermute_b32 v2, v54, v1
	s_and_saveexec_b64 s[2:3], vcc
	s_cbranch_execz .LBB1_4
; %bb.3:
	s_waitcnt lgkmcnt(0)
	v_add_f32_e32 v1, v1, v2
	ds_write_b32 v53, v1 offset:16
.LBB1_4:
	s_or_b64 exec, exec, s[2:3]
	v_cmp_eq_u32_e32 vcc, 0, v0
	s_waitcnt lgkmcnt(0)
	s_barrier
	s_and_saveexec_b64 s[2:3], vcc
	s_cbranch_execz .LBB1_6
; %bb.5:
	v_mov_b32_e32 v8, 0
	ds_read_b128 v[0:3], v8
	ds_read_b128 v[4:7], v8 offset:16
	s_ashr_i32 s7, s6, 31
	s_lshl_b64 s[2:3], s[6:7], 2
	s_add_u32 s0, s0, s2
	s_waitcnt lgkmcnt(1)
	v_add_f32_e32 v0, 0, v0
	v_add_f32_e32 v0, v0, v1
	;; [unrolled: 1-line block ×4, first 2 shown]
	s_addc_u32 s1, s1, s3
	global_store_dword v8, v0, s[0:1]
	s_waitcnt lgkmcnt(0)
	v_add_f32_e32 v0, 0, v4
	v_add_f32_e32 v0, v0, v5
	;; [unrolled: 1-line block ×4, first 2 shown]
	global_store_dword v8, v0, s[0:1] offset:1024
.LBB1_6:
	s_endpgm
	.section	.rodata,"a",@progbits
	.p2align	6, 0x0
	.amdhsa_kernel _Z23fp32_router_gemm_kernelIfLi128ELi2ELi256ELi3072EEvPfPKT_PKf
		.amdhsa_group_segment_fixed_size 32
		.amdhsa_private_segment_fixed_size 0
		.amdhsa_kernarg_size 24
		.amdhsa_user_sgpr_count 6
		.amdhsa_user_sgpr_private_segment_buffer 1
		.amdhsa_user_sgpr_dispatch_ptr 0
		.amdhsa_user_sgpr_queue_ptr 0
		.amdhsa_user_sgpr_kernarg_segment_ptr 1
		.amdhsa_user_sgpr_dispatch_id 0
		.amdhsa_user_sgpr_flat_scratch_init 0
		.amdhsa_user_sgpr_kernarg_preload_length 0
		.amdhsa_user_sgpr_kernarg_preload_offset 0
		.amdhsa_user_sgpr_private_segment_size 0
		.amdhsa_uses_dynamic_stack 0
		.amdhsa_system_sgpr_private_segment_wavefront_offset 0
		.amdhsa_system_sgpr_workgroup_id_x 1
		.amdhsa_system_sgpr_workgroup_id_y 0
		.amdhsa_system_sgpr_workgroup_id_z 0
		.amdhsa_system_sgpr_workgroup_info 0
		.amdhsa_system_vgpr_workitem_id 0
		.amdhsa_next_free_vgpr 63
		.amdhsa_next_free_sgpr 10
		.amdhsa_accum_offset 64
		.amdhsa_reserve_vcc 1
		.amdhsa_reserve_flat_scratch 0
		.amdhsa_float_round_mode_32 0
		.amdhsa_float_round_mode_16_64 0
		.amdhsa_float_denorm_mode_32 3
		.amdhsa_float_denorm_mode_16_64 3
		.amdhsa_dx10_clamp 1
		.amdhsa_ieee_mode 1
		.amdhsa_fp16_overflow 0
		.amdhsa_tg_split 0
		.amdhsa_exception_fp_ieee_invalid_op 0
		.amdhsa_exception_fp_denorm_src 0
		.amdhsa_exception_fp_ieee_div_zero 0
		.amdhsa_exception_fp_ieee_overflow 0
		.amdhsa_exception_fp_ieee_underflow 0
		.amdhsa_exception_fp_ieee_inexact 0
		.amdhsa_exception_int_div_zero 0
	.end_amdhsa_kernel
	.section	.text._Z23fp32_router_gemm_kernelIfLi128ELi2ELi256ELi3072EEvPfPKT_PKf,"axG",@progbits,_Z23fp32_router_gemm_kernelIfLi128ELi2ELi256ELi3072EEvPfPKT_PKf,comdat
.Lfunc_end1:
	.size	_Z23fp32_router_gemm_kernelIfLi128ELi2ELi256ELi3072EEvPfPKT_PKf, .Lfunc_end1-_Z23fp32_router_gemm_kernelIfLi128ELi2ELi256ELi3072EEvPfPKT_PKf
                                        ; -- End function
	.section	.AMDGPU.csdata,"",@progbits
; Kernel info:
; codeLenInByte = 964
; NumSgprs: 14
; NumVgprs: 63
; NumAgprs: 0
; TotalNumVgprs: 63
; ScratchSize: 0
; MemoryBound: 0
; FloatMode: 240
; IeeeMode: 1
; LDSByteSize: 32 bytes/workgroup (compile time only)
; SGPRBlocks: 1
; VGPRBlocks: 7
; NumSGPRsForWavesPerEU: 14
; NumVGPRsForWavesPerEU: 63
; AccumOffset: 64
; Occupancy: 8
; WaveLimiterHint : 1
; COMPUTE_PGM_RSRC2:SCRATCH_EN: 0
; COMPUTE_PGM_RSRC2:USER_SGPR: 6
; COMPUTE_PGM_RSRC2:TRAP_HANDLER: 0
; COMPUTE_PGM_RSRC2:TGID_X_EN: 1
; COMPUTE_PGM_RSRC2:TGID_Y_EN: 0
; COMPUTE_PGM_RSRC2:TGID_Z_EN: 0
; COMPUTE_PGM_RSRC2:TIDIG_COMP_CNT: 0
; COMPUTE_PGM_RSRC3_GFX90A:ACCUM_OFFSET: 15
; COMPUTE_PGM_RSRC3_GFX90A:TG_SPLIT: 0
	.section	.text._Z23fp32_router_gemm_kernelIfLi128ELi3ELi256ELi3072EEvPfPKT_PKf,"axG",@progbits,_Z23fp32_router_gemm_kernelIfLi128ELi3ELi256ELi3072EEvPfPKT_PKf,comdat
	.protected	_Z23fp32_router_gemm_kernelIfLi128ELi3ELi256ELi3072EEvPfPKT_PKf ; -- Begin function _Z23fp32_router_gemm_kernelIfLi128ELi3ELi256ELi3072EEvPfPKT_PKf
	.globl	_Z23fp32_router_gemm_kernelIfLi128ELi3ELi256ELi3072EEvPfPKT_PKf
	.p2align	8
	.type	_Z23fp32_router_gemm_kernelIfLi128ELi3ELi256ELi3072EEvPfPKT_PKf,@function
_Z23fp32_router_gemm_kernelIfLi128ELi3ELi256ELi3072EEvPfPKT_PKf: ; @_Z23fp32_router_gemm_kernelIfLi128ELi3ELi256ELi3072EEvPfPKT_PKf
; %bb.0:
	s_load_dwordx2 s[8:9], s[4:5], 0x10
	s_load_dwordx4 s[0:3], s[4:5], 0x0
	s_mul_i32 s4, s6, 0xc00
	s_ashr_i32 s5, s4, 31
	s_lshl_b64 s[4:5], s[4:5], 2
	s_waitcnt lgkmcnt(0)
	s_add_u32 s4, s8, s4
	s_addc_u32 s5, s9, s5
	v_lshlrev_b32_e32 v1, 4, v0
	global_load_dwordx4 v[2:5], v1, s[4:5]
	global_load_dwordx4 v[26:29], v1, s[2:3]
	global_load_dwordx4 v[30:33], v1, s[2:3] offset:2048
	global_load_dwordx4 v[6:9], v1, s[4:5] offset:2048
	v_mov_b32_e32 v10, s3
	v_add_co_u32_e32 v38, vcc, s2, v1
	s_movk_i32 s8, 0x2000
	v_addc_co_u32_e32 v39, vcc, 0, v10, vcc
	v_add_co_u32_e32 v34, vcc, s8, v38
	s_movk_i32 s7, 0x1000
	v_addc_co_u32_e32 v35, vcc, 0, v39, vcc
	v_add_co_u32_e32 v10, vcc, s7, v38
	v_addc_co_u32_e32 v11, vcc, 0, v39, vcc
	v_mov_b32_e32 v12, s5
	v_add_co_u32_e32 v1, vcc, s4, v1
	v_addc_co_u32_e32 v12, vcc, 0, v12, vcc
	v_add_co_u32_e32 v36, vcc, s8, v1
	v_addc_co_u32_e32 v37, vcc, 0, v12, vcc
	global_load_dwordx4 v[74:77], v[34:35], off offset:-4096
	global_load_dwordx4 v[78:81], v[10:11], off offset:2048
	global_load_dwordx4 v[18:21], v[36:37], off offset:-4096
	v_add_co_u32_e32 v22, vcc, s7, v1
	v_addc_co_u32_e32 v23, vcc, 0, v12, vcc
	global_load_dwordx4 v[14:17], v[22:23], off offset:2048
	global_load_dwordx4 v[82:85], v[34:35], off
	global_load_dwordx4 v[10:13], v[36:37], off
	global_load_dwordx4 v[86:89], v[34:35], off offset:2048
	s_nop 0
	global_load_dwordx4 v[22:25], v[36:37], off offset:2048
	s_movk_i32 s9, 0x3000
	v_add_co_u32_e32 v58, vcc, s9, v38
	s_movk_i32 s10, 0x4000
	v_addc_co_u32_e32 v59, vcc, 0, v39, vcc
	v_add_co_u32_e32 v90, vcc, s10, v38
	s_movk_i32 s11, 0x6000
	v_addc_co_u32_e32 v91, vcc, 0, v39, vcc
	;; [unrolled: 3-line block ×4, first 2 shown]
	v_add_co_u32_e32 v92, vcc, s13, v38
	s_mov_b32 s14, 0x8000
	v_addc_co_u32_e32 v93, vcc, 0, v39, vcc
	v_add_co_u32_e32 v94, vcc, s14, v38
	v_addc_co_u32_e32 v95, vcc, 0, v39, vcc
	global_load_dwordx4 v[38:41], v[92:93], off
	global_load_dwordx4 v[50:53], v[58:59], off offset:2048
	global_load_dwordx4 v[34:37], v[60:61], off offset:2048
	global_load_dwordx4 v[54:57], v[62:63], off offset:-4096
	global_load_dwordx4 v[46:49], v[62:63], off
	global_load_dwordx4 v[42:45], v[62:63], off offset:2048
	v_mbcnt_lo_u32_b32 v1, -1, 0
	s_waitcnt vmcnt(16)
	v_fma_f32 v96, v26, v2, 0
	v_fmac_f32_e32 v96, v27, v3
	v_fmac_f32_e32 v96, v28, v4
	;; [unrolled: 1-line block ×3, first 2 shown]
	s_waitcnt vmcnt(14)
	v_fmac_f32_e32 v96, v30, v6
	v_fmac_f32_e32 v96, v31, v7
	;; [unrolled: 1-line block ×4, first 2 shown]
	global_load_dwordx4 v[66:69], v[90:91], off
	global_load_dwordx4 v[62:65], v[90:91], off offset:2048
	global_load_dwordx4 v[58:61], v[92:93], off offset:2048
	global_load_dwordx4 v[30:33], v[94:95], off
	global_load_dwordx4 v[70:73], v[90:91], off offset:-4096
	global_load_dwordx4 v[26:29], v[94:95], off offset:2048
	v_mbcnt_hi_u32_b32 v90, -1, v1
	v_xor_b32_e32 v1, 16, v90
	s_waitcnt vmcnt(17)
	v_fmac_f32_e32 v96, v74, v18
	v_fmac_f32_e32 v96, v75, v19
	v_fmac_f32_e32 v96, v76, v20
	v_fmac_f32_e32 v96, v77, v21
	s_waitcnt vmcnt(16)
	v_fmac_f32_e32 v96, v78, v14
	v_fmac_f32_e32 v96, v79, v15
	v_fmac_f32_e32 v96, v80, v16
	v_fmac_f32_e32 v96, v81, v17
	;; [unrolled: 5-line block ×3, first 2 shown]
	v_and_b32_e32 v74, 64, v90
	s_waitcnt vmcnt(12)
	v_fmac_f32_e32 v96, v86, v22
	v_add_u32_e32 v77, 64, v74
	v_fmac_f32_e32 v96, v87, v23
	v_cmp_lt_i32_e32 vcc, v1, v77
	v_fmac_f32_e32 v96, v88, v24
	v_cndmask_b32_e32 v1, v90, v1, vcc
	v_fmac_f32_e32 v96, v89, v25
	v_lshlrev_b32_e32 v1, 2, v1
	ds_bpermute_b32 v75, v1, v96
	v_xor_b32_e32 v74, 8, v90
	v_cmp_lt_i32_e32 vcc, v74, v77
	v_cndmask_b32_e32 v74, v90, v74, vcc
	v_lshlrev_b32_e32 v74, 2, v74
	s_waitcnt lgkmcnt(0)
	v_add_f32_e32 v76, v96, v75
	ds_bpermute_b32 v78, v74, v76
	v_xor_b32_e32 v75, 4, v90
	v_cmp_lt_i32_e32 vcc, v75, v77
	v_cndmask_b32_e32 v75, v90, v75, vcc
	v_lshlrev_b32_e32 v75, 2, v75
	s_waitcnt lgkmcnt(0)
	v_add_f32_e32 v78, v76, v78
	;; [unrolled: 7-line block ×3, first 2 shown]
	ds_bpermute_b32 v79, v76, v78
	v_xor_b32_e32 v80, 1, v90
	v_cmp_lt_i32_e32 vcc, v80, v77
	v_cndmask_b32_e32 v77, v90, v80, vcc
	v_and_b32_e32 v81, 31, v0
	s_waitcnt lgkmcnt(0)
	v_add_f32_e32 v79, v78, v79
	v_lshlrev_b32_e32 v78, 2, v77
	ds_bpermute_b32 v80, v78, v79
	v_lshrrev_b32_e32 v77, 5, v0
	v_cmp_eq_u32_e32 vcc, 0, v81
	v_lshlrev_b32_e32 v77, 2, v77
	s_and_saveexec_b64 s[2:3], vcc
	s_cbranch_execz .LBB2_2
; %bb.1:
	s_waitcnt lgkmcnt(0)
	v_add_f32_e32 v79, v79, v80
	ds_write_b32 v77, v79
.LBB2_2:
	s_or_b64 exec, exec, s[2:3]
	s_waitcnt vmcnt(1)
	v_fma_f32 v70, v70, v2, 0
	v_fmac_f32_e32 v70, v71, v3
	v_fmac_f32_e32 v70, v72, v4
	;; [unrolled: 1-line block ×23, first 2 shown]
	ds_bpermute_b32 v38, v1, v70
	s_waitcnt lgkmcnt(0)
	v_add_f32_e32 v38, v70, v38
	ds_bpermute_b32 v39, v74, v38
	s_waitcnt lgkmcnt(0)
	v_add_f32_e32 v38, v38, v39
	;; [unrolled: 3-line block ×4, first 2 shown]
	ds_bpermute_b32 v39, v78, v38
	s_and_saveexec_b64 s[2:3], vcc
	s_cbranch_execz .LBB2_4
; %bb.3:
	s_waitcnt lgkmcnt(0)
	v_add_f32_e32 v38, v38, v39
	ds_write_b32 v77, v38 offset:16
.LBB2_4:
	s_or_b64 exec, exec, s[2:3]
	v_fma_f32 v2, v54, v2, 0
	v_fmac_f32_e32 v2, v55, v3
	v_fmac_f32_e32 v2, v56, v4
	;; [unrolled: 1-line block ×19, first 2 shown]
	s_waitcnt vmcnt(0)
	v_fmac_f32_e32 v2, v26, v22
	v_fmac_f32_e32 v2, v27, v23
	;; [unrolled: 1-line block ×4, first 2 shown]
	ds_bpermute_b32 v1, v1, v2
	s_waitcnt lgkmcnt(0)
	v_add_f32_e32 v1, v2, v1
	ds_bpermute_b32 v2, v74, v1
	s_waitcnt lgkmcnt(0)
	v_add_f32_e32 v1, v1, v2
	;; [unrolled: 3-line block ×4, first 2 shown]
	ds_bpermute_b32 v2, v78, v1
	s_and_saveexec_b64 s[2:3], vcc
	s_cbranch_execz .LBB2_6
; %bb.5:
	s_waitcnt lgkmcnt(0)
	v_add_f32_e32 v1, v1, v2
	ds_write_b32 v77, v1 offset:32
.LBB2_6:
	s_or_b64 exec, exec, s[2:3]
	v_cmp_eq_u32_e32 vcc, 0, v0
	s_waitcnt lgkmcnt(0)
	s_barrier
	s_and_saveexec_b64 s[2:3], vcc
	s_cbranch_execz .LBB2_8
; %bb.7:
	v_mov_b32_e32 v12, 0
	ds_read_b128 v[0:3], v12
	s_ashr_i32 s7, s6, 31
	ds_read_b128 v[4:7], v12 offset:16
	ds_read_b128 v[8:11], v12 offset:32
	s_lshl_b64 s[2:3], s[6:7], 2
	s_add_u32 s0, s0, s2
	s_waitcnt lgkmcnt(2)
	v_add_f32_e32 v0, 0, v0
	v_add_f32_e32 v0, v0, v1
	;; [unrolled: 1-line block ×4, first 2 shown]
	s_addc_u32 s1, s1, s3
	global_store_dword v12, v0, s[0:1]
	s_waitcnt lgkmcnt(1)
	v_add_f32_e32 v0, 0, v4
	v_add_f32_e32 v0, v0, v5
	;; [unrolled: 1-line block ×4, first 2 shown]
	global_store_dword v12, v0, s[0:1] offset:1024
	s_waitcnt lgkmcnt(0)
	v_add_f32_e32 v0, 0, v8
	v_add_f32_e32 v0, v0, v9
	;; [unrolled: 1-line block ×4, first 2 shown]
	global_store_dword v12, v0, s[0:1] offset:2048
.LBB2_8:
	s_endpgm
	.section	.rodata,"a",@progbits
	.p2align	6, 0x0
	.amdhsa_kernel _Z23fp32_router_gemm_kernelIfLi128ELi3ELi256ELi3072EEvPfPKT_PKf
		.amdhsa_group_segment_fixed_size 48
		.amdhsa_private_segment_fixed_size 0
		.amdhsa_kernarg_size 24
		.amdhsa_user_sgpr_count 6
		.amdhsa_user_sgpr_private_segment_buffer 1
		.amdhsa_user_sgpr_dispatch_ptr 0
		.amdhsa_user_sgpr_queue_ptr 0
		.amdhsa_user_sgpr_kernarg_segment_ptr 1
		.amdhsa_user_sgpr_dispatch_id 0
		.amdhsa_user_sgpr_flat_scratch_init 0
		.amdhsa_user_sgpr_kernarg_preload_length 0
		.amdhsa_user_sgpr_kernarg_preload_offset 0
		.amdhsa_user_sgpr_private_segment_size 0
		.amdhsa_uses_dynamic_stack 0
		.amdhsa_system_sgpr_private_segment_wavefront_offset 0
		.amdhsa_system_sgpr_workgroup_id_x 1
		.amdhsa_system_sgpr_workgroup_id_y 0
		.amdhsa_system_sgpr_workgroup_id_z 0
		.amdhsa_system_sgpr_workgroup_info 0
		.amdhsa_system_vgpr_workitem_id 0
		.amdhsa_next_free_vgpr 97
		.amdhsa_next_free_sgpr 15
		.amdhsa_accum_offset 100
		.amdhsa_reserve_vcc 1
		.amdhsa_reserve_flat_scratch 0
		.amdhsa_float_round_mode_32 0
		.amdhsa_float_round_mode_16_64 0
		.amdhsa_float_denorm_mode_32 3
		.amdhsa_float_denorm_mode_16_64 3
		.amdhsa_dx10_clamp 1
		.amdhsa_ieee_mode 1
		.amdhsa_fp16_overflow 0
		.amdhsa_tg_split 0
		.amdhsa_exception_fp_ieee_invalid_op 0
		.amdhsa_exception_fp_denorm_src 0
		.amdhsa_exception_fp_ieee_div_zero 0
		.amdhsa_exception_fp_ieee_overflow 0
		.amdhsa_exception_fp_ieee_underflow 0
		.amdhsa_exception_fp_ieee_inexact 0
		.amdhsa_exception_int_div_zero 0
	.end_amdhsa_kernel
	.section	.text._Z23fp32_router_gemm_kernelIfLi128ELi3ELi256ELi3072EEvPfPKT_PKf,"axG",@progbits,_Z23fp32_router_gemm_kernelIfLi128ELi3ELi256ELi3072EEvPfPKT_PKf,comdat
.Lfunc_end2:
	.size	_Z23fp32_router_gemm_kernelIfLi128ELi3ELi256ELi3072EEvPfPKT_PKf, .Lfunc_end2-_Z23fp32_router_gemm_kernelIfLi128ELi3ELi256ELi3072EEvPfPKT_PKf
                                        ; -- End function
	.section	.AMDGPU.csdata,"",@progbits
; Kernel info:
; codeLenInByte = 1288
; NumSgprs: 19
; NumVgprs: 97
; NumAgprs: 0
; TotalNumVgprs: 97
; ScratchSize: 0
; MemoryBound: 0
; FloatMode: 240
; IeeeMode: 1
; LDSByteSize: 48 bytes/workgroup (compile time only)
; SGPRBlocks: 2
; VGPRBlocks: 12
; NumSGPRsForWavesPerEU: 19
; NumVGPRsForWavesPerEU: 97
; AccumOffset: 100
; Occupancy: 4
; WaveLimiterHint : 1
; COMPUTE_PGM_RSRC2:SCRATCH_EN: 0
; COMPUTE_PGM_RSRC2:USER_SGPR: 6
; COMPUTE_PGM_RSRC2:TRAP_HANDLER: 0
; COMPUTE_PGM_RSRC2:TGID_X_EN: 1
; COMPUTE_PGM_RSRC2:TGID_Y_EN: 0
; COMPUTE_PGM_RSRC2:TGID_Z_EN: 0
; COMPUTE_PGM_RSRC2:TIDIG_COMP_CNT: 0
; COMPUTE_PGM_RSRC3_GFX90A:ACCUM_OFFSET: 24
; COMPUTE_PGM_RSRC3_GFX90A:TG_SPLIT: 0
	.section	.text._Z23fp32_router_gemm_kernelIfLi128ELi4ELi256ELi3072EEvPfPKT_PKf,"axG",@progbits,_Z23fp32_router_gemm_kernelIfLi128ELi4ELi256ELi3072EEvPfPKT_PKf,comdat
	.protected	_Z23fp32_router_gemm_kernelIfLi128ELi4ELi256ELi3072EEvPfPKT_PKf ; -- Begin function _Z23fp32_router_gemm_kernelIfLi128ELi4ELi256ELi3072EEvPfPKT_PKf
	.globl	_Z23fp32_router_gemm_kernelIfLi128ELi4ELi256ELi3072EEvPfPKT_PKf
	.p2align	8
	.type	_Z23fp32_router_gemm_kernelIfLi128ELi4ELi256ELi3072EEvPfPKT_PKf,@function
_Z23fp32_router_gemm_kernelIfLi128ELi4ELi256ELi3072EEvPfPKT_PKf: ; @_Z23fp32_router_gemm_kernelIfLi128ELi4ELi256ELi3072EEvPfPKT_PKf
; %bb.0:
	s_load_dwordx2 s[8:9], s[4:5], 0x10
	s_load_dwordx4 s[0:3], s[4:5], 0x0
	s_mul_i32 s4, s6, 0xc00
	s_ashr_i32 s5, s4, 31
	s_lshl_b64 s[4:5], s[4:5], 2
	s_waitcnt lgkmcnt(0)
	s_add_u32 s4, s8, s4
	s_addc_u32 s5, s9, s5
	v_lshlrev_b32_e32 v1, 4, v0
	v_mov_b32_e32 v2, s5
	v_add_co_u32_e32 v10, vcc, s4, v1
	v_addc_co_u32_e32 v11, vcc, 0, v2, vcc
	v_mov_b32_e32 v2, s3
	v_add_co_u32_e32 v42, vcc, s2, v1
	v_addc_co_u32_e32 v43, vcc, 0, v2, vcc
	global_load_dwordx4 v[2:5], v1, s[4:5]
	global_load_dwordx4 v[6:9], v1, s[4:5] offset:2048
	global_load_dwordx4 v[30:33], v1, s[2:3]
	global_load_dwordx4 v[26:29], v1, s[2:3] offset:2048
	s_movk_i32 s2, 0x1000
	v_add_co_u32_e32 v34, vcc, s2, v10
	v_addc_co_u32_e32 v35, vcc, 0, v11, vcc
	s_movk_i32 s3, 0x2000
	v_add_co_u32_e32 v36, vcc, s3, v10
	v_addc_co_u32_e32 v37, vcc, 0, v11, vcc
	v_add_co_u32_e32 v38, vcc, s3, v42
	v_addc_co_u32_e32 v39, vcc, 0, v43, vcc
	;; [unrolled: 2-line block ×3, first 2 shown]
	global_load_dwordx4 v[10:13], v[34:35], off offset:2048
	global_load_dwordx4 v[106:109], v[40:41], off offset:2048
	global_load_dwordx4 v[110:113], v[38:39], off offset:-4096
	global_load_dwordx4 v[114:117], v[38:39], off
	global_load_dwordx4 v[18:21], v[36:37], off offset:-4096
	global_load_dwordx4 v[14:17], v[36:37], off
	global_load_dwordx4 v[118:121], v[38:39], off offset:2048
	global_load_dwordx4 v[22:25], v[36:37], off offset:2048
	s_movk_i32 s2, 0x3000
	v_add_co_u32_e32 v38, vcc, s2, v42
	s_movk_i32 s3, 0x4000
	v_addc_co_u32_e32 v39, vcc, 0, v43, vcc
	v_add_co_u32_e32 v122, vcc, s3, v42
	s_movk_i32 s4, 0x6000
	v_addc_co_u32_e32 v123, vcc, 0, v43, vcc
	;; [unrolled: 3-line block ×3, first 2 shown]
	v_add_co_u32_e32 v50, vcc, s5, v42
	s_mov_b32 s7, 0x9000
	v_addc_co_u32_e32 v51, vcc, 0, v43, vcc
	v_add_co_u32_e32 v52, vcc, s7, v42
	s_mov_b32 s8, 0xa000
	v_addc_co_u32_e32 v53, vcc, 0, v43, vcc
	v_add_co_u32_e32 v102, vcc, s8, v42
	s_movk_i32 s9, 0x5000
	v_addc_co_u32_e32 v103, vcc, 0, v43, vcc
	v_add_co_u32_e32 v104, vcc, s9, v42
	v_addc_co_u32_e32 v105, vcc, 0, v43, vcc
	s_mov_b32 s2, 0x8000
	v_add_co_u32_e32 v124, vcc, s2, v42
	v_addc_co_u32_e32 v125, vcc, 0, v43, vcc
	s_mov_b32 s2, 0xb000
	v_add_co_u32_e32 v126, vcc, s2, v42
	global_load_dwordx4 v[58:61], v[104:105], off
	v_addc_co_u32_e32 v127, vcc, 0, v43, vcc
	global_load_dwordx4 v[90:93], v[38:39], off offset:2048
	global_load_dwordx4 v[74:77], v[40:41], off offset:2048
	;; [unrolled: 1-line block ×3, first 2 shown]
	global_load_dwordx4 v[82:85], v[50:51], off offset:-4096
	global_load_dwordx4 v[78:81], v[50:51], off
	global_load_dwordx4 v[70:73], v[50:51], off offset:2048
	global_load_dwordx4 v[54:57], v[102:103], off offset:-4096
	global_load_dwordx4 v[46:49], v[102:103], off
	global_load_dwordx4 v[34:37], v[102:103], off offset:2048
	global_load_dwordx4 v[86:89], v[104:105], off offset:2048
	global_load_dwordx4 v[66:69], v[124:125], off
	global_load_dwordx4 v[98:101], v[122:123], off
	global_load_dwordx4 v[94:97], v[122:123], off offset:2048
	global_load_dwordx4 v[62:65], v[124:125], off offset:2048
                                        ; kill: killed $vgpr50 killed $vgpr51
                                        ; kill: killed $vgpr124 killed $vgpr125
                                        ; kill: killed $vgpr104 killed $vgpr105
                                        ; kill: killed $vgpr102 killed $vgpr103
                                        ; kill: killed $vgpr52 killed $vgpr53
                                        ; kill: killed $vgpr40 killed $vgpr41
                                        ; kill: killed $vgpr38 killed $vgpr39
	global_load_dwordx4 v[50:53], v[126:127], off
	global_load_dwordx4 v[102:105], v[122:123], off offset:-4096
	global_load_dwordx4 v[38:41], v[126:127], off offset:2048
	v_mbcnt_lo_u32_b32 v1, -1, 0
	s_waitcnt vmcnt(27)
	v_fma_f32 v30, v30, v2, 0
	v_fmac_f32_e32 v30, v31, v3
	v_fmac_f32_e32 v30, v32, v4
	;; [unrolled: 1-line block ×3, first 2 shown]
	s_waitcnt vmcnt(26)
	v_fmac_f32_e32 v30, v26, v6
	v_fmac_f32_e32 v30, v27, v7
	;; [unrolled: 1-line block ×4, first 2 shown]
	v_mbcnt_hi_u32_b32 v29, -1, v1
	v_and_b32_e32 v26, 64, v29
	v_xor_b32_e32 v1, 16, v29
	v_add_u32_e32 v31, 64, v26
	v_cmp_lt_i32_e32 vcc, v1, v31
	v_cndmask_b32_e32 v1, v29, v1, vcc
	v_lshlrev_b32_e32 v1, 2, v1
	v_xor_b32_e32 v26, 8, v29
	v_cmp_lt_i32_e32 vcc, v26, v31
	s_waitcnt vmcnt(21)
	v_fmac_f32_e32 v30, v110, v18
	v_fmac_f32_e32 v30, v111, v19
	v_fmac_f32_e32 v30, v112, v20
	v_fmac_f32_e32 v30, v113, v21
	v_fmac_f32_e32 v30, v106, v10
	v_fmac_f32_e32 v30, v107, v11
	v_fmac_f32_e32 v30, v108, v12
	v_fmac_f32_e32 v30, v109, v13
	s_waitcnt vmcnt(20)
	v_fmac_f32_e32 v30, v114, v14
	v_fmac_f32_e32 v30, v115, v15
	v_fmac_f32_e32 v30, v116, v16
	v_fmac_f32_e32 v30, v117, v17
	s_waitcnt vmcnt(18)
	v_fmac_f32_e32 v30, v118, v22
	v_fmac_f32_e32 v30, v119, v23
	v_fmac_f32_e32 v30, v120, v24
	v_fmac_f32_e32 v30, v121, v25
	ds_bpermute_b32 v27, v1, v30
	v_cndmask_b32_e32 v26, v29, v26, vcc
	v_lshlrev_b32_e32 v26, 2, v26
	v_xor_b32_e32 v33, 1, v29
	s_waitcnt lgkmcnt(0)
	v_add_f32_e32 v28, v30, v27
	ds_bpermute_b32 v30, v26, v28
	v_xor_b32_e32 v27, 4, v29
	v_cmp_lt_i32_e32 vcc, v27, v31
	v_cndmask_b32_e32 v27, v29, v27, vcc
	v_lshlrev_b32_e32 v27, 2, v27
	s_waitcnt lgkmcnt(0)
	v_add_f32_e32 v30, v28, v30
	ds_bpermute_b32 v32, v27, v30
	v_xor_b32_e32 v28, 2, v29
	v_cmp_lt_i32_e32 vcc, v28, v31
	v_cndmask_b32_e32 v28, v29, v28, vcc
	v_lshlrev_b32_e32 v28, 2, v28
	s_waitcnt lgkmcnt(0)
	v_add_f32_e32 v30, v30, v32
	ds_bpermute_b32 v32, v28, v30
	v_cmp_lt_i32_e32 vcc, v33, v31
	v_cndmask_b32_e32 v29, v29, v33, vcc
	v_and_b32_e32 v33, 31, v0
	v_cmp_eq_u32_e32 vcc, 0, v33
	s_waitcnt lgkmcnt(0)
	v_add_f32_e32 v31, v30, v32
	v_lshlrev_b32_e32 v30, 2, v29
	ds_bpermute_b32 v32, v30, v31
	v_lshrrev_b32_e32 v29, 5, v0
	v_lshlrev_b32_e32 v29, 2, v29
	s_and_saveexec_b64 s[2:3], vcc
	s_cbranch_execz .LBB3_2
; %bb.1:
	s_waitcnt lgkmcnt(0)
	v_add_f32_e32 v31, v31, v32
	ds_write_b32 v29, v31
.LBB3_2:
	s_or_b64 exec, exec, s[2:3]
	s_waitcnt vmcnt(1)
	v_fma_f32 v31, v102, v2, 0
	v_fmac_f32_e32 v31, v103, v3
	v_fmac_f32_e32 v31, v104, v4
	;; [unrolled: 1-line block ×23, first 2 shown]
	s_waitcnt lgkmcnt(0)
	ds_bpermute_b32 v32, v1, v31
	s_waitcnt lgkmcnt(0)
	v_add_f32_e32 v31, v31, v32
	ds_bpermute_b32 v32, v26, v31
	s_waitcnt lgkmcnt(0)
	v_add_f32_e32 v31, v31, v32
	;; [unrolled: 3-line block ×4, first 2 shown]
	ds_bpermute_b32 v32, v30, v31
	s_and_saveexec_b64 s[2:3], vcc
	s_cbranch_execz .LBB3_4
; %bb.3:
	s_waitcnt lgkmcnt(0)
	v_add_f32_e32 v31, v31, v32
	ds_write_b32 v29, v31 offset:16
.LBB3_4:
	s_or_b64 exec, exec, s[2:3]
	v_fma_f32 v31, v82, v2, 0
	v_fmac_f32_e32 v31, v83, v3
	v_fmac_f32_e32 v31, v84, v4
	v_fmac_f32_e32 v31, v85, v5
	v_fmac_f32_e32 v31, v74, v6
	v_fmac_f32_e32 v31, v75, v7
	v_fmac_f32_e32 v31, v76, v8
	v_fmac_f32_e32 v31, v77, v9
	v_fmac_f32_e32 v31, v78, v18
	v_fmac_f32_e32 v31, v79, v19
	v_fmac_f32_e32 v31, v80, v20
	v_fmac_f32_e32 v31, v81, v21
	v_fmac_f32_e32 v31, v70, v10
	v_fmac_f32_e32 v31, v71, v11
	v_fmac_f32_e32 v31, v72, v12
	v_fmac_f32_e32 v31, v73, v13
	v_fmac_f32_e32 v31, v66, v14
	v_fmac_f32_e32 v31, v67, v15
	v_fmac_f32_e32 v31, v68, v16
	v_fmac_f32_e32 v31, v69, v17
	v_fmac_f32_e32 v31, v62, v22
	v_fmac_f32_e32 v31, v63, v23
	v_fmac_f32_e32 v31, v64, v24
	v_fmac_f32_e32 v31, v65, v25
	s_waitcnt lgkmcnt(0)
	ds_bpermute_b32 v32, v1, v31
	s_waitcnt lgkmcnt(0)
	v_add_f32_e32 v31, v31, v32
	ds_bpermute_b32 v32, v26, v31
	s_waitcnt lgkmcnt(0)
	v_add_f32_e32 v31, v31, v32
	;; [unrolled: 3-line block ×4, first 2 shown]
	ds_bpermute_b32 v32, v30, v31
	s_and_saveexec_b64 s[2:3], vcc
	s_cbranch_execz .LBB3_6
; %bb.5:
	s_waitcnt lgkmcnt(0)
	v_add_f32_e32 v31, v31, v32
	ds_write_b32 v29, v31 offset:32
.LBB3_6:
	s_or_b64 exec, exec, s[2:3]
	v_fma_f32 v2, v54, v2, 0
	v_fmac_f32_e32 v2, v55, v3
	v_fmac_f32_e32 v2, v56, v4
	;; [unrolled: 1-line block ×19, first 2 shown]
	s_waitcnt vmcnt(0)
	v_fmac_f32_e32 v2, v38, v22
	v_fmac_f32_e32 v2, v39, v23
	;; [unrolled: 1-line block ×4, first 2 shown]
	ds_bpermute_b32 v1, v1, v2
	s_waitcnt lgkmcnt(0)
	v_add_f32_e32 v1, v2, v1
	ds_bpermute_b32 v2, v26, v1
	s_waitcnt lgkmcnt(0)
	v_add_f32_e32 v1, v1, v2
	;; [unrolled: 3-line block ×4, first 2 shown]
	ds_bpermute_b32 v2, v30, v1
	s_and_saveexec_b64 s[2:3], vcc
	s_cbranch_execz .LBB3_8
; %bb.7:
	s_waitcnt lgkmcnt(0)
	v_add_f32_e32 v1, v1, v2
	ds_write_b32 v29, v1 offset:48
.LBB3_8:
	s_or_b64 exec, exec, s[2:3]
	v_cmp_eq_u32_e32 vcc, 0, v0
	s_waitcnt lgkmcnt(0)
	s_barrier
	s_and_saveexec_b64 s[2:3], vcc
	s_cbranch_execz .LBB3_10
; %bb.9:
	v_mov_b32_e32 v16, 0
	ds_read_b128 v[0:3], v16
	s_ashr_i32 s7, s6, 31
	ds_read_b128 v[4:7], v16 offset:16
	ds_read_b128 v[8:11], v16 offset:32
	;; [unrolled: 1-line block ×3, first 2 shown]
	s_lshl_b64 s[2:3], s[6:7], 2
	s_add_u32 s0, s0, s2
	s_waitcnt lgkmcnt(3)
	v_add_f32_e32 v0, 0, v0
	v_add_f32_e32 v0, v0, v1
	;; [unrolled: 1-line block ×4, first 2 shown]
	s_addc_u32 s1, s1, s3
	global_store_dword v16, v0, s[0:1]
	s_waitcnt lgkmcnt(2)
	v_add_f32_e32 v0, 0, v4
	v_add_f32_e32 v0, v0, v5
	v_add_f32_e32 v0, v0, v6
	v_add_f32_e32 v0, v0, v7
	global_store_dword v16, v0, s[0:1] offset:1024
	s_waitcnt lgkmcnt(1)
	v_add_f32_e32 v0, 0, v8
	v_add_f32_e32 v0, v0, v9
	v_add_f32_e32 v0, v0, v10
	v_add_f32_e32 v0, v0, v11
	global_store_dword v16, v0, s[0:1] offset:2048
	;; [unrolled: 6-line block ×3, first 2 shown]
.LBB3_10:
	s_endpgm
	.section	.rodata,"a",@progbits
	.p2align	6, 0x0
	.amdhsa_kernel _Z23fp32_router_gemm_kernelIfLi128ELi4ELi256ELi3072EEvPfPKT_PKf
		.amdhsa_group_segment_fixed_size 64
		.amdhsa_private_segment_fixed_size 0
		.amdhsa_kernarg_size 24
		.amdhsa_user_sgpr_count 6
		.amdhsa_user_sgpr_private_segment_buffer 1
		.amdhsa_user_sgpr_dispatch_ptr 0
		.amdhsa_user_sgpr_queue_ptr 0
		.amdhsa_user_sgpr_kernarg_segment_ptr 1
		.amdhsa_user_sgpr_dispatch_id 0
		.amdhsa_user_sgpr_flat_scratch_init 0
		.amdhsa_user_sgpr_kernarg_preload_length 0
		.amdhsa_user_sgpr_kernarg_preload_offset 0
		.amdhsa_user_sgpr_private_segment_size 0
		.amdhsa_uses_dynamic_stack 0
		.amdhsa_system_sgpr_private_segment_wavefront_offset 0
		.amdhsa_system_sgpr_workgroup_id_x 1
		.amdhsa_system_sgpr_workgroup_id_y 0
		.amdhsa_system_sgpr_workgroup_id_z 0
		.amdhsa_system_sgpr_workgroup_info 0
		.amdhsa_system_vgpr_workitem_id 0
		.amdhsa_next_free_vgpr 128
		.amdhsa_next_free_sgpr 10
		.amdhsa_accum_offset 128
		.amdhsa_reserve_vcc 1
		.amdhsa_reserve_flat_scratch 0
		.amdhsa_float_round_mode_32 0
		.amdhsa_float_round_mode_16_64 0
		.amdhsa_float_denorm_mode_32 3
		.amdhsa_float_denorm_mode_16_64 3
		.amdhsa_dx10_clamp 1
		.amdhsa_ieee_mode 1
		.amdhsa_fp16_overflow 0
		.amdhsa_tg_split 0
		.amdhsa_exception_fp_ieee_invalid_op 0
		.amdhsa_exception_fp_denorm_src 0
		.amdhsa_exception_fp_ieee_div_zero 0
		.amdhsa_exception_fp_ieee_overflow 0
		.amdhsa_exception_fp_ieee_underflow 0
		.amdhsa_exception_fp_ieee_inexact 0
		.amdhsa_exception_int_div_zero 0
	.end_amdhsa_kernel
	.section	.text._Z23fp32_router_gemm_kernelIfLi128ELi4ELi256ELi3072EEvPfPKT_PKf,"axG",@progbits,_Z23fp32_router_gemm_kernelIfLi128ELi4ELi256ELi3072EEvPfPKT_PKf,comdat
.Lfunc_end3:
	.size	_Z23fp32_router_gemm_kernelIfLi128ELi4ELi256ELi3072EEvPfPKT_PKf, .Lfunc_end3-_Z23fp32_router_gemm_kernelIfLi128ELi4ELi256ELi3072EEvPfPKT_PKf
                                        ; -- End function
	.section	.AMDGPU.csdata,"",@progbits
; Kernel info:
; codeLenInByte = 1620
; NumSgprs: 14
; NumVgprs: 128
; NumAgprs: 0
; TotalNumVgprs: 128
; ScratchSize: 0
; MemoryBound: 0
; FloatMode: 240
; IeeeMode: 1
; LDSByteSize: 64 bytes/workgroup (compile time only)
; SGPRBlocks: 1
; VGPRBlocks: 15
; NumSGPRsForWavesPerEU: 14
; NumVGPRsForWavesPerEU: 128
; AccumOffset: 128
; Occupancy: 4
; WaveLimiterHint : 1
; COMPUTE_PGM_RSRC2:SCRATCH_EN: 0
; COMPUTE_PGM_RSRC2:USER_SGPR: 6
; COMPUTE_PGM_RSRC2:TRAP_HANDLER: 0
; COMPUTE_PGM_RSRC2:TGID_X_EN: 1
; COMPUTE_PGM_RSRC2:TGID_Y_EN: 0
; COMPUTE_PGM_RSRC2:TGID_Z_EN: 0
; COMPUTE_PGM_RSRC2:TIDIG_COMP_CNT: 0
; COMPUTE_PGM_RSRC3_GFX90A:ACCUM_OFFSET: 31
; COMPUTE_PGM_RSRC3_GFX90A:TG_SPLIT: 0
	.section	.text._Z23fp32_router_gemm_kernelIfLi128ELi5ELi256ELi3072EEvPfPKT_PKf,"axG",@progbits,_Z23fp32_router_gemm_kernelIfLi128ELi5ELi256ELi3072EEvPfPKT_PKf,comdat
	.protected	_Z23fp32_router_gemm_kernelIfLi128ELi5ELi256ELi3072EEvPfPKT_PKf ; -- Begin function _Z23fp32_router_gemm_kernelIfLi128ELi5ELi256ELi3072EEvPfPKT_PKf
	.globl	_Z23fp32_router_gemm_kernelIfLi128ELi5ELi256ELi3072EEvPfPKT_PKf
	.p2align	8
	.type	_Z23fp32_router_gemm_kernelIfLi128ELi5ELi256ELi3072EEvPfPKT_PKf,@function
_Z23fp32_router_gemm_kernelIfLi128ELi5ELi256ELi3072EEvPfPKT_PKf: ; @_Z23fp32_router_gemm_kernelIfLi128ELi5ELi256ELi3072EEvPfPKT_PKf
; %bb.0:
	s_load_dwordx2 s[8:9], s[4:5], 0x10
	s_load_dwordx4 s[0:3], s[4:5], 0x0
	s_mul_i32 s4, s6, 0xc00
	s_ashr_i32 s5, s4, 31
	s_lshl_b64 s[4:5], s[4:5], 2
	s_waitcnt lgkmcnt(0)
	s_add_u32 s4, s8, s4
	s_addc_u32 s5, s9, s5
	v_lshlrev_b32_e32 v1, 4, v0
	v_mov_b32_e32 v2, s5
	v_add_co_u32_e32 v10, vcc, s4, v1
	v_addc_co_u32_e32 v11, vcc, 0, v2, vcc
	v_mov_b32_e32 v2, s3
	v_add_co_u32_e32 v34, vcc, s2, v1
	v_addc_co_u32_e32 v35, vcc, 0, v2, vcc
	global_load_dwordx4 v[2:5], v1, s[4:5]
	global_load_dwordx4 v[6:9], v1, s[4:5] offset:2048
	global_load_dwordx4 v[50:53], v1, s[2:3]
	global_load_dwordx4 v[46:49], v1, s[2:3] offset:2048
	s_movk_i32 s3, 0x2000
	v_add_co_u32_e32 v26, vcc, s3, v10
	v_addc_co_u32_e32 v27, vcc, 0, v11, vcc
	v_add_co_u32_e32 v28, vcc, s3, v34
	s_movk_i32 s2, 0x1000
	v_addc_co_u32_e32 v29, vcc, 0, v35, vcc
	v_add_co_u32_e32 v22, vcc, s2, v10
	v_addc_co_u32_e32 v23, vcc, 0, v11, vcc
	v_add_co_u32_e32 v24, vcc, s2, v34
	v_addc_co_u32_e32 v25, vcc, 0, v35, vcc
	s_movk_i32 s2, 0x3000
	global_load_dwordx4 v[10:13], v[22:23], off offset:2048
	global_load_dwordx4 v[62:65], v[24:25], off offset:2048
	global_load_dwordx4 v[134:137], v[28:29], off offset:-4096
	global_load_dwordx4 v[138:141], v[28:29], off
	global_load_dwordx4 v[18:21], v[26:27], off offset:-4096
	global_load_dwordx4 v[14:17], v[26:27], off
	global_load_dwordx4 v[142:145], v[28:29], off offset:2048
	global_load_dwordx4 v[22:25], v[26:27], off offset:2048
	v_add_co_u32_e32 v26, vcc, s2, v34
	s_movk_i32 s3, 0x4000
	v_addc_co_u32_e32 v27, vcc, 0, v35, vcc
	v_add_co_u32_e32 v28, vcc, s3, v34
	s_movk_i32 s4, 0x6000
	v_addc_co_u32_e32 v29, vcc, 0, v35, vcc
	;; [unrolled: 3-line block ×3, first 2 shown]
	v_add_co_u32_e32 v32, vcc, s5, v34
	s_mov_b32 s7, 0x9000
	v_addc_co_u32_e32 v33, vcc, 0, v35, vcc
	v_add_co_u32_e32 v42, vcc, s7, v34
	s_mov_b32 s8, 0xa000
	v_addc_co_u32_e32 v43, vcc, 0, v35, vcc
	;; [unrolled: 3-line block ×3, first 2 shown]
	v_add_co_u32_e32 v66, vcc, s9, v34
	s_movk_i32 s11, 0x5000
	v_addc_co_u32_e32 v67, vcc, 0, v35, vcc
	v_add_co_u32_e32 v68, vcc, s11, v34
	s_mov_b32 s10, 0xd000
	v_addc_co_u32_e32 v69, vcc, 0, v35, vcc
	v_add_co_u32_e32 v74, vcc, s10, v34
	v_addc_co_u32_e32 v75, vcc, 0, v35, vcc
	s_mov_b32 s2, 0x8000
	v_add_co_u32_e32 v76, vcc, s2, v34
	v_addc_co_u32_e32 v77, vcc, 0, v35, vcc
	s_mov_b32 s2, 0xb000
	;; [unrolled: 3-line block ×3, first 2 shown]
	v_add_co_u32_e32 v146, vcc, s2, v34
	global_load_dwordx4 v[82:85], v[68:69], off
	v_addc_co_u32_e32 v147, vcc, 0, v35, vcc
	global_load_dwordx4 v[118:121], v[26:27], off offset:2048
	global_load_dwordx4 v[106:109], v[30:31], off offset:2048
	;; [unrolled: 1-line block ×4, first 2 shown]
	global_load_dwordx4 v[110:113], v[32:33], off offset:-4096
	global_load_dwordx4 v[102:105], v[32:33], off
	global_load_dwordx4 v[90:93], v[32:33], off offset:2048
	global_load_dwordx4 v[86:89], v[44:45], off offset:-4096
	global_load_dwordx4 v[70:73], v[44:45], off
	global_load_dwordx4 v[58:61], v[44:45], off offset:2048
	global_load_dwordx4 v[54:57], v[74:75], off offset:-4096
	global_load_dwordx4 v[38:41], v[74:75], off
                                        ; kill: killed $vgpr44 killed $vgpr45
                                        ; kill: killed $vgpr66 killed $vgpr67
                                        ; kill: killed $vgpr42 killed $vgpr43
                                        ; kill: killed $vgpr30 killed $vgpr31
                                        ; kill: killed $vgpr26 killed $vgpr27
                                        ; kill: killed $vgpr32 killed $vgpr33
	global_load_dwordx4 v[30:33], v[74:75], off offset:2048
	global_load_dwordx4 v[114:117], v[68:69], off offset:2048
	global_load_dwordx4 v[98:101], v[76:77], off
                                        ; kill: killed $vgpr68 killed $vgpr69
                                        ; kill: killed $vgpr74 killed $vgpr75
	global_load_dwordx4 v[94:97], v[76:77], off offset:2048
	s_nop 0
	global_load_dwordx4 v[74:77], v[130:131], off
	global_load_dwordx4 v[126:129], v[28:29], off
	global_load_dwordx4 v[122:125], v[28:29], off offset:2048
	global_load_dwordx4 v[66:69], v[130:131], off offset:2048
	global_load_dwordx4 v[42:45], v[146:147], off
	s_nop 0
	global_load_dwordx4 v[130:133], v[28:29], off offset:-4096
	s_nop 0
	global_load_dwordx4 v[26:29], v[146:147], off offset:2048
	s_waitcnt vmcnt(33)
	v_fma_f32 v50, v50, v2, 0
	v_fmac_f32_e32 v50, v51, v3
	v_fmac_f32_e32 v50, v52, v4
	;; [unrolled: 1-line block ×3, first 2 shown]
	s_waitcnt vmcnt(32)
	v_fmac_f32_e32 v50, v46, v6
	v_fmac_f32_e32 v50, v47, v7
	;; [unrolled: 1-line block ×4, first 2 shown]
	v_mbcnt_lo_u32_b32 v1, -1, 0
	v_mbcnt_hi_u32_b32 v49, -1, v1
	v_and_b32_e32 v1, 64, v49
	v_add_u32_e32 v51, 64, v1
	v_xor_b32_e32 v1, 16, v49
	v_cmp_lt_i32_e32 vcc, v1, v51
	v_cndmask_b32_e32 v1, v49, v1, vcc
	v_lshlrev_b32_e32 v1, 2, v1
	s_waitcnt vmcnt(27)
	v_fmac_f32_e32 v50, v134, v18
	v_fmac_f32_e32 v50, v135, v19
	;; [unrolled: 1-line block ×8, first 2 shown]
	s_waitcnt vmcnt(26)
	v_fmac_f32_e32 v50, v138, v14
	v_fmac_f32_e32 v50, v139, v15
	;; [unrolled: 1-line block ×4, first 2 shown]
	s_waitcnt vmcnt(24)
	v_fmac_f32_e32 v50, v142, v22
	v_fmac_f32_e32 v50, v143, v23
	v_fmac_f32_e32 v50, v144, v24
	v_fmac_f32_e32 v50, v145, v25
	ds_bpermute_b32 v47, v1, v50
	v_xor_b32_e32 v46, 8, v49
	v_cmp_lt_i32_e32 vcc, v46, v51
	v_cndmask_b32_e32 v46, v49, v46, vcc
	v_lshlrev_b32_e32 v46, 2, v46
	s_waitcnt lgkmcnt(0)
	v_add_f32_e32 v48, v50, v47
	ds_bpermute_b32 v50, v46, v48
	v_xor_b32_e32 v47, 4, v49
	v_cmp_lt_i32_e32 vcc, v47, v51
	v_cndmask_b32_e32 v47, v49, v47, vcc
	v_lshlrev_b32_e32 v47, 2, v47
	s_waitcnt lgkmcnt(0)
	v_add_f32_e32 v50, v48, v50
	;; [unrolled: 7-line block ×3, first 2 shown]
	ds_bpermute_b32 v52, v48, v50
	v_xor_b32_e32 v53, 1, v49
	v_cmp_lt_i32_e32 vcc, v53, v51
	v_cndmask_b32_e32 v49, v49, v53, vcc
	s_waitcnt lgkmcnt(0)
	v_add_f32_e32 v51, v50, v52
	v_lshlrev_b32_e32 v50, 2, v49
	ds_bpermute_b32 v52, v50, v51
	v_and_b32_e32 v49, 31, v0
	v_cmp_eq_u32_e32 vcc, 0, v49
	v_lshrrev_b32_e32 v49, 5, v0
	v_lshlrev_b32_e32 v49, 2, v49
	s_and_saveexec_b64 s[2:3], vcc
	s_cbranch_execz .LBB4_2
; %bb.1:
	s_waitcnt lgkmcnt(0)
	v_add_f32_e32 v51, v51, v52
	ds_write_b32 v49, v51
.LBB4_2:
	s_or_b64 exec, exec, s[2:3]
	s_waitcnt vmcnt(1)
	v_fma_f32 v51, v130, v2, 0
	v_fmac_f32_e32 v51, v131, v3
	v_fmac_f32_e32 v51, v132, v4
	v_fmac_f32_e32 v51, v133, v5
	v_fmac_f32_e32 v51, v118, v6
	v_fmac_f32_e32 v51, v119, v7
	v_fmac_f32_e32 v51, v120, v8
	v_fmac_f32_e32 v51, v121, v9
	v_fmac_f32_e32 v51, v126, v18
	v_fmac_f32_e32 v51, v127, v19
	v_fmac_f32_e32 v51, v128, v20
	v_fmac_f32_e32 v51, v129, v21
	v_fmac_f32_e32 v51, v122, v10
	v_fmac_f32_e32 v51, v123, v11
	v_fmac_f32_e32 v51, v124, v12
	v_fmac_f32_e32 v51, v125, v13
	v_fmac_f32_e32 v51, v82, v14
	v_fmac_f32_e32 v51, v83, v15
	v_fmac_f32_e32 v51, v84, v16
	v_fmac_f32_e32 v51, v85, v17
	v_fmac_f32_e32 v51, v114, v22
	v_fmac_f32_e32 v51, v115, v23
	v_fmac_f32_e32 v51, v116, v24
	v_fmac_f32_e32 v51, v117, v25
	s_waitcnt lgkmcnt(0)
	ds_bpermute_b32 v52, v1, v51
	s_waitcnt lgkmcnt(0)
	v_add_f32_e32 v51, v51, v52
	ds_bpermute_b32 v52, v46, v51
	s_waitcnt lgkmcnt(0)
	v_add_f32_e32 v51, v51, v52
	ds_bpermute_b32 v52, v47, v51
	s_waitcnt lgkmcnt(0)
	v_add_f32_e32 v51, v51, v52
	ds_bpermute_b32 v52, v48, v51
	s_waitcnt lgkmcnt(0)
	v_add_f32_e32 v51, v51, v52
	ds_bpermute_b32 v52, v50, v51
	s_and_saveexec_b64 s[2:3], vcc
	s_cbranch_execz .LBB4_4
; %bb.3:
	s_waitcnt lgkmcnt(0)
	v_add_f32_e32 v51, v51, v52
	ds_write_b32 v49, v51 offset:16
.LBB4_4:
	s_or_b64 exec, exec, s[2:3]
	v_fma_f32 v51, v110, v2, 0
	v_fmac_f32_e32 v51, v111, v3
	v_fmac_f32_e32 v51, v112, v4
	v_fmac_f32_e32 v51, v113, v5
	v_fmac_f32_e32 v51, v106, v6
	v_fmac_f32_e32 v51, v107, v7
	v_fmac_f32_e32 v51, v108, v8
	v_fmac_f32_e32 v51, v109, v9
	v_fmac_f32_e32 v51, v102, v18
	v_fmac_f32_e32 v51, v103, v19
	v_fmac_f32_e32 v51, v104, v20
	v_fmac_f32_e32 v51, v105, v21
	v_fmac_f32_e32 v51, v90, v10
	v_fmac_f32_e32 v51, v91, v11
	v_fmac_f32_e32 v51, v92, v12
	v_fmac_f32_e32 v51, v93, v13
	v_fmac_f32_e32 v51, v98, v14
	v_fmac_f32_e32 v51, v99, v15
	v_fmac_f32_e32 v51, v100, v16
	v_fmac_f32_e32 v51, v101, v17
	v_fmac_f32_e32 v51, v94, v22
	v_fmac_f32_e32 v51, v95, v23
	v_fmac_f32_e32 v51, v96, v24
	v_fmac_f32_e32 v51, v97, v25
	s_waitcnt lgkmcnt(0)
	ds_bpermute_b32 v52, v1, v51
	s_waitcnt lgkmcnt(0)
	v_add_f32_e32 v51, v51, v52
	ds_bpermute_b32 v52, v46, v51
	s_waitcnt lgkmcnt(0)
	v_add_f32_e32 v51, v51, v52
	ds_bpermute_b32 v52, v47, v51
	s_waitcnt lgkmcnt(0)
	v_add_f32_e32 v51, v51, v52
	ds_bpermute_b32 v52, v48, v51
	s_waitcnt lgkmcnt(0)
	v_add_f32_e32 v51, v51, v52
	ds_bpermute_b32 v52, v50, v51
	s_and_saveexec_b64 s[2:3], vcc
	s_cbranch_execz .LBB4_6
; %bb.5:
	s_waitcnt lgkmcnt(0)
	v_add_f32_e32 v51, v51, v52
	ds_write_b32 v49, v51 offset:32
.LBB4_6:
	s_or_b64 exec, exec, s[2:3]
	;; [unrolled: 46-line block ×3, first 2 shown]
	v_fma_f32 v2, v54, v2, 0
	v_fmac_f32_e32 v2, v55, v3
	v_fmac_f32_e32 v2, v56, v4
	;; [unrolled: 1-line block ×19, first 2 shown]
	s_waitcnt vmcnt(0)
	v_fmac_f32_e32 v2, v26, v22
	v_fmac_f32_e32 v2, v27, v23
	;; [unrolled: 1-line block ×4, first 2 shown]
	ds_bpermute_b32 v1, v1, v2
	s_waitcnt lgkmcnt(0)
	v_add_f32_e32 v1, v2, v1
	ds_bpermute_b32 v2, v46, v1
	s_waitcnt lgkmcnt(0)
	v_add_f32_e32 v1, v1, v2
	ds_bpermute_b32 v2, v47, v1
	s_waitcnt lgkmcnt(0)
	v_add_f32_e32 v1, v1, v2
	ds_bpermute_b32 v2, v48, v1
	s_waitcnt lgkmcnt(0)
	v_add_f32_e32 v1, v1, v2
	ds_bpermute_b32 v2, v50, v1
	s_and_saveexec_b64 s[2:3], vcc
	s_cbranch_execz .LBB4_10
; %bb.9:
	s_waitcnt lgkmcnt(0)
	v_add_f32_e32 v1, v1, v2
	ds_write_b32 v49, v1 offset:64
.LBB4_10:
	s_or_b64 exec, exec, s[2:3]
	v_cmp_eq_u32_e32 vcc, 0, v0
	s_waitcnt lgkmcnt(0)
	s_barrier
	s_and_saveexec_b64 s[2:3], vcc
	s_cbranch_execz .LBB4_12
; %bb.11:
	v_mov_b32_e32 v16, 0
	ds_read_b128 v[0:3], v16
	s_ashr_i32 s7, s6, 31
	ds_read_b128 v[4:7], v16 offset:16
	ds_read_b128 v[8:11], v16 offset:32
	;; [unrolled: 1-line block ×3, first 2 shown]
	s_lshl_b64 s[2:3], s[6:7], 2
	s_add_u32 s0, s0, s2
	s_waitcnt lgkmcnt(3)
	v_add_f32_e32 v0, 0, v0
	v_add_f32_e32 v0, v0, v1
	;; [unrolled: 1-line block ×4, first 2 shown]
	s_addc_u32 s1, s1, s3
	global_store_dword v16, v0, s[0:1]
	s_waitcnt lgkmcnt(2)
	v_add_f32_e32 v0, 0, v4
	v_add_f32_e32 v0, v0, v5
	;; [unrolled: 1-line block ×4, first 2 shown]
	global_store_dword v16, v0, s[0:1] offset:1024
	s_waitcnt lgkmcnt(1)
	v_add_f32_e32 v0, 0, v8
	v_add_f32_e32 v0, v0, v9
	;; [unrolled: 1-line block ×4, first 2 shown]
	global_store_dword v16, v0, s[0:1] offset:2048
	ds_read_b128 v[0:3], v16 offset:64
	s_waitcnt lgkmcnt(1)
	v_add_f32_e32 v4, 0, v12
	v_add_f32_e32 v4, v4, v13
	;; [unrolled: 1-line block ×4, first 2 shown]
	s_waitcnt lgkmcnt(0)
	v_add_f32_e32 v0, 0, v0
	v_add_f32_e32 v0, v0, v1
	;; [unrolled: 1-line block ×4, first 2 shown]
	v_mov_b32_e32 v1, 0x1000
	global_store_dword v16, v4, s[0:1] offset:3072
	global_store_dword v1, v0, s[0:1]
.LBB4_12:
	s_endpgm
	.section	.rodata,"a",@progbits
	.p2align	6, 0x0
	.amdhsa_kernel _Z23fp32_router_gemm_kernelIfLi128ELi5ELi256ELi3072EEvPfPKT_PKf
		.amdhsa_group_segment_fixed_size 80
		.amdhsa_private_segment_fixed_size 0
		.amdhsa_kernarg_size 24
		.amdhsa_user_sgpr_count 6
		.amdhsa_user_sgpr_private_segment_buffer 1
		.amdhsa_user_sgpr_dispatch_ptr 0
		.amdhsa_user_sgpr_queue_ptr 0
		.amdhsa_user_sgpr_kernarg_segment_ptr 1
		.amdhsa_user_sgpr_dispatch_id 0
		.amdhsa_user_sgpr_flat_scratch_init 0
		.amdhsa_user_sgpr_kernarg_preload_length 0
		.amdhsa_user_sgpr_kernarg_preload_offset 0
		.amdhsa_user_sgpr_private_segment_size 0
		.amdhsa_uses_dynamic_stack 0
		.amdhsa_system_sgpr_private_segment_wavefront_offset 0
		.amdhsa_system_sgpr_workgroup_id_x 1
		.amdhsa_system_sgpr_workgroup_id_y 0
		.amdhsa_system_sgpr_workgroup_id_z 0
		.amdhsa_system_sgpr_workgroup_info 0
		.amdhsa_system_vgpr_workitem_id 0
		.amdhsa_next_free_vgpr 148
		.amdhsa_next_free_sgpr 12
		.amdhsa_accum_offset 148
		.amdhsa_reserve_vcc 1
		.amdhsa_reserve_flat_scratch 0
		.amdhsa_float_round_mode_32 0
		.amdhsa_float_round_mode_16_64 0
		.amdhsa_float_denorm_mode_32 3
		.amdhsa_float_denorm_mode_16_64 3
		.amdhsa_dx10_clamp 1
		.amdhsa_ieee_mode 1
		.amdhsa_fp16_overflow 0
		.amdhsa_tg_split 0
		.amdhsa_exception_fp_ieee_invalid_op 0
		.amdhsa_exception_fp_denorm_src 0
		.amdhsa_exception_fp_ieee_div_zero 0
		.amdhsa_exception_fp_ieee_overflow 0
		.amdhsa_exception_fp_ieee_underflow 0
		.amdhsa_exception_fp_ieee_inexact 0
		.amdhsa_exception_int_div_zero 0
	.end_amdhsa_kernel
	.section	.text._Z23fp32_router_gemm_kernelIfLi128ELi5ELi256ELi3072EEvPfPKT_PKf,"axG",@progbits,_Z23fp32_router_gemm_kernelIfLi128ELi5ELi256ELi3072EEvPfPKT_PKf,comdat
.Lfunc_end4:
	.size	_Z23fp32_router_gemm_kernelIfLi128ELi5ELi256ELi3072EEvPfPKT_PKf, .Lfunc_end4-_Z23fp32_router_gemm_kernelIfLi128ELi5ELi256ELi3072EEvPfPKT_PKf
                                        ; -- End function
	.section	.AMDGPU.csdata,"",@progbits
; Kernel info:
; codeLenInByte = 1976
; NumSgprs: 16
; NumVgprs: 148
; NumAgprs: 0
; TotalNumVgprs: 148
; ScratchSize: 0
; MemoryBound: 0
; FloatMode: 240
; IeeeMode: 1
; LDSByteSize: 80 bytes/workgroup (compile time only)
; SGPRBlocks: 1
; VGPRBlocks: 18
; NumSGPRsForWavesPerEU: 16
; NumVGPRsForWavesPerEU: 148
; AccumOffset: 148
; Occupancy: 3
; WaveLimiterHint : 1
; COMPUTE_PGM_RSRC2:SCRATCH_EN: 0
; COMPUTE_PGM_RSRC2:USER_SGPR: 6
; COMPUTE_PGM_RSRC2:TRAP_HANDLER: 0
; COMPUTE_PGM_RSRC2:TGID_X_EN: 1
; COMPUTE_PGM_RSRC2:TGID_Y_EN: 0
; COMPUTE_PGM_RSRC2:TGID_Z_EN: 0
; COMPUTE_PGM_RSRC2:TIDIG_COMP_CNT: 0
; COMPUTE_PGM_RSRC3_GFX90A:ACCUM_OFFSET: 36
; COMPUTE_PGM_RSRC3_GFX90A:TG_SPLIT: 0
	.section	.text._Z23fp32_router_gemm_kernelIfLi128ELi6ELi256ELi3072EEvPfPKT_PKf,"axG",@progbits,_Z23fp32_router_gemm_kernelIfLi128ELi6ELi256ELi3072EEvPfPKT_PKf,comdat
	.protected	_Z23fp32_router_gemm_kernelIfLi128ELi6ELi256ELi3072EEvPfPKT_PKf ; -- Begin function _Z23fp32_router_gemm_kernelIfLi128ELi6ELi256ELi3072EEvPfPKT_PKf
	.globl	_Z23fp32_router_gemm_kernelIfLi128ELi6ELi256ELi3072EEvPfPKT_PKf
	.p2align	8
	.type	_Z23fp32_router_gemm_kernelIfLi128ELi6ELi256ELi3072EEvPfPKT_PKf,@function
_Z23fp32_router_gemm_kernelIfLi128ELi6ELi256ELi3072EEvPfPKT_PKf: ; @_Z23fp32_router_gemm_kernelIfLi128ELi6ELi256ELi3072EEvPfPKT_PKf
; %bb.0:
	s_load_dwordx2 s[8:9], s[4:5], 0x10
	s_load_dwordx4 s[0:3], s[4:5], 0x0
	s_mul_i32 s4, s6, 0xc00
	s_ashr_i32 s5, s4, 31
	s_lshl_b64 s[4:5], s[4:5], 2
	s_waitcnt lgkmcnt(0)
	s_add_u32 s4, s8, s4
	s_addc_u32 s5, s9, s5
	v_lshlrev_b32_e32 v1, 4, v0
	global_load_dwordx4 v[2:5], v1, s[4:5]
	global_load_dwordx4 v[26:29], v1, s[2:3]
	global_load_dwordx4 v[30:33], v1, s[2:3] offset:2048
	global_load_dwordx4 v[6:9], v1, s[4:5] offset:2048
	v_mov_b32_e32 v10, s3
	v_add_co_u32_e32 v54, vcc, s2, v1
	s_movk_i32 s8, 0x2000
	v_addc_co_u32_e32 v55, vcc, 0, v10, vcc
	v_add_co_u32_e32 v10, vcc, s8, v54
	s_movk_i32 s7, 0x1000
	v_addc_co_u32_e32 v11, vcc, 0, v55, vcc
	;; [unrolled: 3-line block ×6, first 2 shown]
	v_add_co_u32_e32 v40, vcc, s12, v54
	s_mov_b32 s13, 0x9000
	v_addc_co_u32_e32 v41, vcc, 0, v55, vcc
	v_add_co_u32_e32 v42, vcc, s13, v54
	s_mov_b32 s14, 0xa000
	v_addc_co_u32_e32 v43, vcc, 0, v55, vcc
	;; [unrolled: 3-line block ×3, first 2 shown]
	v_add_co_u32_e32 v46, vcc, s15, v54
	v_addc_co_u32_e32 v47, vcc, 0, v55, vcc
	v_mov_b32_e32 v12, s5
	v_add_co_u32_e32 v1, vcc, s4, v1
	v_addc_co_u32_e32 v12, vcc, 0, v12, vcc
	v_add_co_u32_e32 v48, vcc, s8, v1
	v_addc_co_u32_e32 v49, vcc, 0, v12, vcc
	v_add_co_u32_e32 v50, vcc, s7, v1
	s_movk_i32 s17, 0x5000
	v_addc_co_u32_e32 v51, vcc, 0, v12, vcc
	s_mov_b32 s16, 0xd000
	s_mov_b32 s2, 0xf000
	global_load_dwordx4 v[146:149], v[10:11], off offset:-4096
	global_load_dwordx4 v[150:153], v[10:11], off
	global_load_dwordx4 v[154:157], v[10:11], off offset:2048
	global_load_dwordx4 v[18:21], v[50:51], off offset:2048
	global_load_dwordx4 v[22:25], v[48:49], off offset:-4096
	global_load_dwordx4 v[14:17], v[48:49], off
	s_nop 0
	global_load_dwordx4 v[10:13], v[48:49], off offset:2048
	v_mbcnt_lo_u32_b32 v1, -1, 0
	s_waitcnt vmcnt(9)
	v_fma_f32 v164, v26, v2, 0
	v_fmac_f32_e32 v164, v27, v3
	v_fmac_f32_e32 v164, v28, v4
	;; [unrolled: 1-line block ×3, first 2 shown]
	s_waitcnt vmcnt(7)
	v_fmac_f32_e32 v164, v30, v6
	v_add_co_u32_e32 v30, vcc, s17, v54
	v_fmac_f32_e32 v164, v31, v7
	v_addc_co_u32_e32 v31, vcc, 0, v55, vcc
	v_fmac_f32_e32 v164, v32, v8
	v_add_co_u32_e32 v32, vcc, s16, v54
	v_fmac_f32_e32 v164, v33, v9
	v_addc_co_u32_e32 v33, vcc, 0, v55, vcc
	global_load_dwordx4 v[158:161], v[34:35], off offset:2048
	global_load_dwordx4 v[82:85], v[30:31], off
	v_add_co_u32_e32 v34, vcc, s2, v54
	v_addc_co_u32_e32 v35, vcc, 0, v55, vcc
	s_mov_b32 s2, 0x10000
	v_add_co_u32_e32 v50, vcc, s2, v54
	v_addc_co_u32_e32 v51, vcc, 0, v55, vcc
	s_mov_b32 s2, 0x8000
	;; [unrolled: 3-line block ×5, first 2 shown]
	v_add_co_u32_e32 v162, vcc, s2, v54
	v_addc_co_u32_e32 v163, vcc, 0, v55, vcc
	global_load_dwordx4 v[130:133], v[36:37], off offset:2048
	global_load_dwordx4 v[114:117], v[38:39], off offset:2048
	;; [unrolled: 1-line block ×5, first 2 shown]
	global_load_dwordx4 v[122:125], v[40:41], off offset:-4096
	global_load_dwordx4 v[110:113], v[40:41], off
	global_load_dwordx4 v[102:105], v[40:41], off offset:2048
	global_load_dwordx4 v[98:101], v[44:45], off offset:-4096
	global_load_dwordx4 v[86:89], v[44:45], off
	global_load_dwordx4 v[74:77], v[44:45], off offset:2048
	global_load_dwordx4 v[70:73], v[32:33], off offset:-4096
	global_load_dwordx4 v[58:61], v[32:33], off
                                        ; kill: killed $vgpr40 killed $vgpr41
                                        ; kill: killed $vgpr34 killed $vgpr35
                                        ; kill: killed $vgpr46 killed $vgpr47
                                        ; kill: killed $vgpr42 killed $vgpr43
                                        ; kill: killed $vgpr38 killed $vgpr39
                                        ; kill: killed $vgpr36 killed $vgpr37
                                        ; kill: killed $vgpr44 killed $vgpr45
	global_load_dwordx4 v[62:65], v[32:33], off offset:2048
	global_load_dwordx4 v[46:49], v[50:51], off offset:-4096
	s_nop 0
	global_load_dwordx4 v[42:45], v[50:51], off
                                        ; kill: killed $vgpr32 killed $vgpr33
	global_load_dwordx4 v[34:37], v[50:51], off offset:2048
	global_load_dwordx4 v[126:129], v[30:31], off offset:2048
	global_load_dwordx4 v[118:121], v[52:53], off
	global_load_dwordx4 v[106:109], v[52:53], off offset:2048
	global_load_dwordx4 v[94:97], v[66:67], off
	global_load_dwordx4 v[78:81], v[66:67], off offset:2048
	s_nop 0
	global_load_dwordx4 v[66:69], v[144:145], off
	global_load_dwordx4 v[138:141], v[142:143], off
	global_load_dwordx4 v[134:137], v[142:143], off offset:2048
	global_load_dwordx4 v[50:53], v[144:145], off offset:2048
	global_load_dwordx4 v[38:41], v[162:163], off
	s_nop 0
	global_load_dwordx4 v[142:145], v[142:143], off offset:-4096
	s_nop 0
	global_load_dwordx4 v[30:33], v[162:163], off offset:2048
	s_waitcnt vmcnt(33)
	v_fmac_f32_e32 v164, v146, v22
	v_fmac_f32_e32 v164, v147, v23
	;; [unrolled: 1-line block ×4, first 2 shown]
	v_mbcnt_hi_u32_b32 v149, -1, v1
	v_and_b32_e32 v1, 64, v149
	v_xor_b32_e32 v147, 8, v149
	s_waitcnt vmcnt(30)
	v_fmac_f32_e32 v164, v158, v18
	v_fmac_f32_e32 v164, v159, v19
	;; [unrolled: 1-line block ×9, first 2 shown]
	v_add_u32_e32 v150, 64, v1
	v_xor_b32_e32 v1, 16, v149
	v_fmac_f32_e32 v164, v155, v11
	v_cmp_lt_i32_e32 vcc, v1, v150
	v_fmac_f32_e32 v164, v156, v12
	v_cndmask_b32_e32 v1, v149, v1, vcc
	v_fmac_f32_e32 v164, v157, v13
	v_lshlrev_b32_e32 v1, 2, v1
	ds_bpermute_b32 v146, v1, v164
	v_cmp_lt_i32_e32 vcc, v147, v150
	v_cndmask_b32_e32 v147, v149, v147, vcc
	v_xor_b32_e32 v151, 4, v149
	v_cmp_lt_i32_e32 vcc, v151, v150
	s_waitcnt lgkmcnt(0)
	v_add_f32_e32 v148, v164, v146
	v_lshlrev_b32_e32 v146, 2, v147
	ds_bpermute_b32 v147, v146, v148
	v_cndmask_b32_e32 v151, v149, v151, vcc
	v_xor_b32_e32 v152, 2, v149
	v_cmp_lt_i32_e32 vcc, v152, v150
	v_cndmask_b32_e32 v152, v149, v152, vcc
	s_waitcnt lgkmcnt(0)
	v_add_f32_e32 v148, v148, v147
	v_lshlrev_b32_e32 v147, 2, v151
	ds_bpermute_b32 v151, v147, v148
	v_xor_b32_e32 v153, 1, v149
	v_cmp_lt_i32_e32 vcc, v153, v150
	v_cndmask_b32_e32 v149, v149, v153, vcc
	v_lshlrev_b32_e32 v150, 2, v149
	s_waitcnt lgkmcnt(0)
	v_add_f32_e32 v151, v148, v151
	v_lshlrev_b32_e32 v148, 2, v152
	ds_bpermute_b32 v152, v148, v151
	v_and_b32_e32 v149, 31, v0
	v_cmp_eq_u32_e32 vcc, 0, v149
	v_lshrrev_b32_e32 v149, 5, v0
	v_lshlrev_b32_e32 v149, 2, v149
	s_waitcnt lgkmcnt(0)
	v_add_f32_e32 v151, v151, v152
	ds_bpermute_b32 v152, v150, v151
	s_and_saveexec_b64 s[2:3], vcc
	s_cbranch_execz .LBB5_2
; %bb.1:
	s_waitcnt lgkmcnt(0)
	v_add_f32_e32 v151, v151, v152
	ds_write_b32 v149, v151
.LBB5_2:
	s_or_b64 exec, exec, s[2:3]
	s_waitcnt vmcnt(1)
	v_fma_f32 v142, v142, v2, 0
	v_fmac_f32_e32 v142, v143, v3
	v_fmac_f32_e32 v142, v144, v4
	;; [unrolled: 1-line block ×23, first 2 shown]
	ds_bpermute_b32 v82, v1, v142
	s_waitcnt lgkmcnt(0)
	v_add_f32_e32 v82, v142, v82
	ds_bpermute_b32 v83, v146, v82
	s_waitcnt lgkmcnt(0)
	v_add_f32_e32 v82, v82, v83
	;; [unrolled: 3-line block ×4, first 2 shown]
	ds_bpermute_b32 v83, v150, v82
	s_and_saveexec_b64 s[2:3], vcc
	s_cbranch_execz .LBB5_4
; %bb.3:
	s_waitcnt lgkmcnt(0)
	v_add_f32_e32 v82, v82, v83
	ds_write_b32 v149, v82 offset:16
.LBB5_4:
	s_or_b64 exec, exec, s[2:3]
	v_fma_f32 v82, v122, v2, 0
	v_fmac_f32_e32 v82, v123, v3
	v_fmac_f32_e32 v82, v124, v4
	;; [unrolled: 1-line block ×23, first 2 shown]
	s_waitcnt lgkmcnt(0)
	ds_bpermute_b32 v83, v1, v82
	s_waitcnt lgkmcnt(0)
	v_add_f32_e32 v82, v82, v83
	ds_bpermute_b32 v83, v146, v82
	s_waitcnt lgkmcnt(0)
	v_add_f32_e32 v82, v82, v83
	;; [unrolled: 3-line block ×4, first 2 shown]
	ds_bpermute_b32 v83, v150, v82
	s_and_saveexec_b64 s[2:3], vcc
	s_cbranch_execz .LBB5_6
; %bb.5:
	s_waitcnt lgkmcnt(0)
	v_add_f32_e32 v82, v82, v83
	ds_write_b32 v149, v82 offset:32
.LBB5_6:
	s_or_b64 exec, exec, s[2:3]
	v_fma_f32 v82, v98, v2, 0
	v_fmac_f32_e32 v82, v99, v3
	v_fmac_f32_e32 v82, v100, v4
	;; [unrolled: 1-line block ×23, first 2 shown]
	ds_bpermute_b32 v74, v1, v82
	s_waitcnt lgkmcnt(0)
	v_add_f32_e32 v74, v82, v74
	ds_bpermute_b32 v75, v146, v74
	s_waitcnt lgkmcnt(0)
	v_add_f32_e32 v74, v74, v75
	;; [unrolled: 3-line block ×4, first 2 shown]
	ds_bpermute_b32 v75, v150, v74
	s_and_saveexec_b64 s[2:3], vcc
	s_cbranch_execz .LBB5_8
; %bb.7:
	s_waitcnt lgkmcnt(0)
	v_add_f32_e32 v74, v74, v75
	ds_write_b32 v149, v74 offset:48
.LBB5_8:
	s_or_b64 exec, exec, s[2:3]
	v_fma_f32 v70, v70, v2, 0
	v_fmac_f32_e32 v70, v71, v3
	v_fmac_f32_e32 v70, v72, v4
	;; [unrolled: 1-line block ×23, first 2 shown]
	ds_bpermute_b32 v50, v1, v70
	s_waitcnt lgkmcnt(0)
	v_add_f32_e32 v50, v70, v50
	ds_bpermute_b32 v51, v146, v50
	s_waitcnt lgkmcnt(0)
	v_add_f32_e32 v50, v50, v51
	;; [unrolled: 3-line block ×4, first 2 shown]
	ds_bpermute_b32 v51, v150, v50
	s_and_saveexec_b64 s[2:3], vcc
	s_cbranch_execz .LBB5_10
; %bb.9:
	s_waitcnt lgkmcnt(0)
	v_add_f32_e32 v50, v50, v51
	ds_write_b32 v149, v50 offset:64
.LBB5_10:
	s_or_b64 exec, exec, s[2:3]
	v_fma_f32 v2, v46, v2, 0
	v_fmac_f32_e32 v2, v47, v3
	v_fmac_f32_e32 v2, v48, v4
	;; [unrolled: 1-line block ×19, first 2 shown]
	s_waitcnt vmcnt(0)
	v_fmac_f32_e32 v2, v30, v10
	v_fmac_f32_e32 v2, v31, v11
	;; [unrolled: 1-line block ×4, first 2 shown]
	ds_bpermute_b32 v1, v1, v2
	s_waitcnt lgkmcnt(0)
	v_add_f32_e32 v1, v2, v1
	ds_bpermute_b32 v2, v146, v1
	s_waitcnt lgkmcnt(0)
	v_add_f32_e32 v1, v1, v2
	;; [unrolled: 3-line block ×4, first 2 shown]
	ds_bpermute_b32 v2, v150, v1
	s_and_saveexec_b64 s[2:3], vcc
	s_cbranch_execz .LBB5_12
; %bb.11:
	s_waitcnt lgkmcnt(0)
	v_add_f32_e32 v1, v1, v2
	ds_write_b32 v149, v1 offset:80
.LBB5_12:
	s_or_b64 exec, exec, s[2:3]
	v_cmp_eq_u32_e32 vcc, 0, v0
	s_waitcnt lgkmcnt(0)
	s_barrier
	s_and_saveexec_b64 s[2:3], vcc
	s_cbranch_execz .LBB5_14
; %bb.13:
	v_mov_b32_e32 v16, 0
	ds_read_b128 v[0:3], v16
	s_ashr_i32 s7, s6, 31
	ds_read_b128 v[4:7], v16 offset:16
	ds_read_b128 v[8:11], v16 offset:32
	;; [unrolled: 1-line block ×3, first 2 shown]
	s_lshl_b64 s[2:3], s[6:7], 2
	s_add_u32 s0, s0, s2
	s_waitcnt lgkmcnt(3)
	v_add_f32_e32 v0, 0, v0
	v_add_f32_e32 v0, v0, v1
	;; [unrolled: 1-line block ×4, first 2 shown]
	s_addc_u32 s1, s1, s3
	global_store_dword v16, v0, s[0:1]
	s_waitcnt lgkmcnt(2)
	v_add_f32_e32 v0, 0, v4
	v_add_f32_e32 v0, v0, v5
	;; [unrolled: 1-line block ×4, first 2 shown]
	global_store_dword v16, v0, s[0:1] offset:1024
	s_waitcnt lgkmcnt(1)
	v_add_f32_e32 v0, 0, v8
	v_add_f32_e32 v0, v0, v9
	;; [unrolled: 1-line block ×4, first 2 shown]
	global_store_dword v16, v0, s[0:1] offset:2048
	s_waitcnt lgkmcnt(0)
	v_add_f32_e32 v0, 0, v12
	v_add_f32_e32 v4, v0, v13
	ds_read_b128 v[0:3], v16 offset:64
	v_add_f32_e32 v4, v4, v14
	v_add_f32_e32 v4, v4, v15
	global_store_dword v16, v4, s[0:1] offset:3072
	ds_read_b128 v[4:7], v16 offset:80
	s_waitcnt lgkmcnt(1)
	v_add_f32_e32 v0, 0, v0
	v_add_f32_e32 v0, v0, v1
	v_add_f32_e32 v0, v0, v2
	v_add_f32_e32 v0, v0, v3
	v_mov_b32_e32 v1, 0x1000
	global_store_dword v1, v0, s[0:1]
	s_waitcnt lgkmcnt(0)
	v_add_f32_e32 v0, 0, v4
	v_add_f32_e32 v0, v0, v5
	;; [unrolled: 1-line block ×4, first 2 shown]
	global_store_dword v1, v0, s[0:1] offset:1024
.LBB5_14:
	s_endpgm
	.section	.rodata,"a",@progbits
	.p2align	6, 0x0
	.amdhsa_kernel _Z23fp32_router_gemm_kernelIfLi128ELi6ELi256ELi3072EEvPfPKT_PKf
		.amdhsa_group_segment_fixed_size 96
		.amdhsa_private_segment_fixed_size 0
		.amdhsa_kernarg_size 24
		.amdhsa_user_sgpr_count 6
		.amdhsa_user_sgpr_private_segment_buffer 1
		.amdhsa_user_sgpr_dispatch_ptr 0
		.amdhsa_user_sgpr_queue_ptr 0
		.amdhsa_user_sgpr_kernarg_segment_ptr 1
		.amdhsa_user_sgpr_dispatch_id 0
		.amdhsa_user_sgpr_flat_scratch_init 0
		.amdhsa_user_sgpr_kernarg_preload_length 0
		.amdhsa_user_sgpr_kernarg_preload_offset 0
		.amdhsa_user_sgpr_private_segment_size 0
		.amdhsa_uses_dynamic_stack 0
		.amdhsa_system_sgpr_private_segment_wavefront_offset 0
		.amdhsa_system_sgpr_workgroup_id_x 1
		.amdhsa_system_sgpr_workgroup_id_y 0
		.amdhsa_system_sgpr_workgroup_id_z 0
		.amdhsa_system_sgpr_workgroup_info 0
		.amdhsa_system_vgpr_workitem_id 0
		.amdhsa_next_free_vgpr 165
		.amdhsa_next_free_sgpr 18
		.amdhsa_accum_offset 168
		.amdhsa_reserve_vcc 1
		.amdhsa_reserve_flat_scratch 0
		.amdhsa_float_round_mode_32 0
		.amdhsa_float_round_mode_16_64 0
		.amdhsa_float_denorm_mode_32 3
		.amdhsa_float_denorm_mode_16_64 3
		.amdhsa_dx10_clamp 1
		.amdhsa_ieee_mode 1
		.amdhsa_fp16_overflow 0
		.amdhsa_tg_split 0
		.amdhsa_exception_fp_ieee_invalid_op 0
		.amdhsa_exception_fp_denorm_src 0
		.amdhsa_exception_fp_ieee_div_zero 0
		.amdhsa_exception_fp_ieee_overflow 0
		.amdhsa_exception_fp_ieee_underflow 0
		.amdhsa_exception_fp_ieee_inexact 0
		.amdhsa_exception_int_div_zero 0
	.end_amdhsa_kernel
	.section	.text._Z23fp32_router_gemm_kernelIfLi128ELi6ELi256ELi3072EEvPfPKT_PKf,"axG",@progbits,_Z23fp32_router_gemm_kernelIfLi128ELi6ELi256ELi3072EEvPfPKT_PKf,comdat
.Lfunc_end5:
	.size	_Z23fp32_router_gemm_kernelIfLi128ELi6ELi256ELi3072EEvPfPKT_PKf, .Lfunc_end5-_Z23fp32_router_gemm_kernelIfLi128ELi6ELi256ELi3072EEvPfPKT_PKf
                                        ; -- End function
	.section	.AMDGPU.csdata,"",@progbits
; Kernel info:
; codeLenInByte = 2304
; NumSgprs: 22
; NumVgprs: 165
; NumAgprs: 0
; TotalNumVgprs: 165
; ScratchSize: 0
; MemoryBound: 0
; FloatMode: 240
; IeeeMode: 1
; LDSByteSize: 96 bytes/workgroup (compile time only)
; SGPRBlocks: 2
; VGPRBlocks: 20
; NumSGPRsForWavesPerEU: 22
; NumVGPRsForWavesPerEU: 165
; AccumOffset: 168
; Occupancy: 3
; WaveLimiterHint : 1
; COMPUTE_PGM_RSRC2:SCRATCH_EN: 0
; COMPUTE_PGM_RSRC2:USER_SGPR: 6
; COMPUTE_PGM_RSRC2:TRAP_HANDLER: 0
; COMPUTE_PGM_RSRC2:TGID_X_EN: 1
; COMPUTE_PGM_RSRC2:TGID_Y_EN: 0
; COMPUTE_PGM_RSRC2:TGID_Z_EN: 0
; COMPUTE_PGM_RSRC2:TIDIG_COMP_CNT: 0
; COMPUTE_PGM_RSRC3_GFX90A:ACCUM_OFFSET: 41
; COMPUTE_PGM_RSRC3_GFX90A:TG_SPLIT: 0
	.section	.text._Z23fp32_router_gemm_kernelIfLi128ELi7ELi256ELi3072EEvPfPKT_PKf,"axG",@progbits,_Z23fp32_router_gemm_kernelIfLi128ELi7ELi256ELi3072EEvPfPKT_PKf,comdat
	.protected	_Z23fp32_router_gemm_kernelIfLi128ELi7ELi256ELi3072EEvPfPKT_PKf ; -- Begin function _Z23fp32_router_gemm_kernelIfLi128ELi7ELi256ELi3072EEvPfPKT_PKf
	.globl	_Z23fp32_router_gemm_kernelIfLi128ELi7ELi256ELi3072EEvPfPKT_PKf
	.p2align	8
	.type	_Z23fp32_router_gemm_kernelIfLi128ELi7ELi256ELi3072EEvPfPKT_PKf,@function
_Z23fp32_router_gemm_kernelIfLi128ELi7ELi256ELi3072EEvPfPKT_PKf: ; @_Z23fp32_router_gemm_kernelIfLi128ELi7ELi256ELi3072EEvPfPKT_PKf
; %bb.0:
	s_load_dwordx2 s[8:9], s[4:5], 0x10
	s_load_dwordx4 s[0:3], s[4:5], 0x0
	s_mul_i32 s4, s6, 0xc00
	s_ashr_i32 s5, s4, 31
	s_lshl_b64 s[4:5], s[4:5], 2
	s_waitcnt lgkmcnt(0)
	s_add_u32 s4, s8, s4
	s_addc_u32 s5, s9, s5
	v_lshlrev_b32_e32 v1, 4, v0
	v_mov_b32_e32 v2, s5
	v_add_co_u32_e32 v10, vcc, s4, v1
	v_addc_co_u32_e32 v11, vcc, 0, v2, vcc
	v_mov_b32_e32 v2, s3
	v_add_co_u32_e32 v50, vcc, s2, v1
	v_addc_co_u32_e32 v51, vcc, 0, v2, vcc
	global_load_dwordx4 v[2:5], v1, s[4:5]
	global_load_dwordx4 v[6:9], v1, s[4:5] offset:2048
	global_load_dwordx4 v[78:81], v1, s[2:3]
	global_load_dwordx4 v[74:77], v1, s[2:3] offset:2048
	s_movk_i32 s3, 0x2000
	v_add_co_u32_e32 v26, vcc, s3, v10
	v_addc_co_u32_e32 v27, vcc, 0, v11, vcc
	v_add_co_u32_e32 v28, vcc, s3, v50
	s_movk_i32 s2, 0x1000
	v_addc_co_u32_e32 v29, vcc, 0, v51, vcc
	v_add_co_u32_e32 v22, vcc, s2, v10
	v_addc_co_u32_e32 v23, vcc, 0, v11, vcc
	v_add_co_u32_e32 v30, vcc, s2, v50
	v_addc_co_u32_e32 v31, vcc, 0, v51, vcc
	s_movk_i32 s2, 0x3000
	v_add_co_u32_e32 v32, vcc, s2, v50
	s_movk_i32 s3, 0x4000
	v_addc_co_u32_e32 v33, vcc, 0, v51, vcc
	v_add_co_u32_e32 v34, vcc, s3, v50
	s_movk_i32 s4, 0x6000
	v_addc_co_u32_e32 v35, vcc, 0, v51, vcc
	;; [unrolled: 3-line block ×3, first 2 shown]
	v_add_co_u32_e32 v38, vcc, s5, v50
	s_mov_b32 s7, 0x9000
	v_addc_co_u32_e32 v39, vcc, 0, v51, vcc
	v_add_co_u32_e32 v40, vcc, s7, v50
	s_mov_b32 s8, 0xa000
	v_addc_co_u32_e32 v41, vcc, 0, v51, vcc
	;; [unrolled: 3-line block ×3, first 2 shown]
	v_add_co_u32_e32 v44, vcc, s9, v50
	s_movk_i32 s11, 0x5000
	v_addc_co_u32_e32 v45, vcc, 0, v51, vcc
	v_add_co_u32_e32 v54, vcc, s11, v50
	s_mov_b32 s10, 0xd000
	v_addc_co_u32_e32 v55, vcc, 0, v51, vcc
	global_load_dwordx4 v[10:13], v[22:23], off offset:2048
	global_load_dwordx4 v[102:105], v[28:29], off offset:-4096
	global_load_dwordx4 v[110:113], v[28:29], off
	global_load_dwordx4 v[18:21], v[26:27], off offset:-4096
	global_load_dwordx4 v[14:17], v[26:27], off
	global_load_dwordx4 v[186:189], v[28:29], off offset:2048
	global_load_dwordx4 v[22:25], v[26:27], off offset:2048
	;; [unrolled: 1-line block ×3, first 2 shown]
	global_load_dwordx4 v[114:117], v[54:55], off
	v_add_co_u32_e32 v30, vcc, s10, v50
	v_addc_co_u32_e32 v31, vcc, 0, v51, vcc
	s_mov_b32 s2, 0xf000
	v_add_co_u32_e32 v46, vcc, s2, v50
	v_addc_co_u32_e32 v47, vcc, 0, v51, vcc
	s_mov_b32 s2, 0x10000
	;; [unrolled: 3-line block ×9, first 2 shown]
	v_add_co_u32_e32 v194, vcc, s2, v50
	v_addc_co_u32_e32 v195, vcc, 0, v51, vcc
	global_load_dwordx4 v[170:173], v[32:33], off offset:2048
	global_load_dwordx4 v[154:157], v[36:37], off offset:2048
	;; [unrolled: 1-line block ×6, first 2 shown]
	global_load_dwordx4 v[162:165], v[38:39], off offset:-4096
	global_load_dwordx4 v[146:149], v[38:39], off
	global_load_dwordx4 v[142:145], v[38:39], off offset:2048
                                        ; kill: killed $vgpr56 killed $vgpr57
                                        ; kill: killed $vgpr46 killed $vgpr47
                                        ; kill: killed $vgpr44 killed $vgpr45
                                        ; kill: killed $vgpr40 killed $vgpr41
                                        ; kill: killed $vgpr36 killed $vgpr37
                                        ; kill: killed $vgpr32 killed $vgpr33
                                        ; kill: killed $vgpr38 killed $vgpr39
	global_load_dwordx4 v[138:141], v[42:43], off offset:-4096
	global_load_dwordx4 v[134:137], v[42:43], off
	global_load_dwordx4 v[126:129], v[42:43], off offset:2048
	global_load_dwordx4 v[106:109], v[30:31], off offset:-4096
                                        ; kill: killed $vgpr42 killed $vgpr43
	global_load_dwordx4 v[98:101], v[30:31], off
	global_load_dwordx4 v[90:93], v[30:31], off offset:2048
	global_load_dwordx4 v[70:73], v[48:49], off offset:-4096
	global_load_dwordx4 v[66:69], v[48:49], off
	global_load_dwordx4 v[58:61], v[48:49], off offset:2048
	s_nop 0
	global_load_dwordx4 v[46:49], v[62:63], off offset:-4096
	global_load_dwordx4 v[42:45], v[62:63], off
	global_load_dwordx4 v[30:33], v[62:63], off offset:2048
	global_load_dwordx4 v[166:169], v[54:55], off offset:2048
	global_load_dwordx4 v[158:161], v[64:65], off
	global_load_dwordx4 v[150:153], v[64:65], off offset:2048
	global_load_dwordx4 v[130:133], v[86:87], off
	;; [unrolled: 2-line block ×3, first 2 shown]
	s_nop 0
	global_load_dwordx4 v[86:89], v[88:89], off offset:2048
	s_nop 0
	global_load_dwordx4 v[62:65], v[182:183], off
	global_load_dwordx4 v[178:181], v[34:35], off
	global_load_dwordx4 v[174:177], v[34:35], off offset:2048
	global_load_dwordx4 v[54:57], v[182:183], off offset:2048
	global_load_dwordx4 v[38:41], v[194:195], off
	s_nop 0
	global_load_dwordx4 v[182:185], v[34:35], off offset:-4096
	s_nop 0
	global_load_dwordx4 v[34:37], v[194:195], off offset:2048
	s_waitcnt vmcnt(45)
	v_fma_f32 v78, v78, v2, 0
	v_fmac_f32_e32 v78, v79, v3
	v_fmac_f32_e32 v78, v80, v4
	;; [unrolled: 1-line block ×3, first 2 shown]
	s_waitcnt vmcnt(44)
	v_fmac_f32_e32 v78, v74, v6
	v_fmac_f32_e32 v78, v75, v7
	;; [unrolled: 1-line block ×4, first 2 shown]
	v_mbcnt_lo_u32_b32 v1, -1, 0
	v_mbcnt_hi_u32_b32 v77, -1, v1
	v_and_b32_e32 v1, 64, v77
	v_add_u32_e32 v79, 64, v1
	v_xor_b32_e32 v1, 16, v77
	v_cmp_lt_i32_e32 vcc, v1, v79
	v_cndmask_b32_e32 v1, v77, v1, vcc
	v_lshlrev_b32_e32 v1, 2, v1
	v_xor_b32_e32 v75, 8, v77
	v_cmp_lt_i32_e32 vcc, v75, v79
	v_cndmask_b32_e32 v75, v77, v75, vcc
	v_xor_b32_e32 v80, 2, v77
	v_xor_b32_e32 v81, 1, v77
	s_waitcnt vmcnt(40)
	v_fmac_f32_e32 v78, v102, v18
	v_fmac_f32_e32 v78, v103, v19
	;; [unrolled: 1-line block ×4, first 2 shown]
	s_waitcnt vmcnt(36)
	v_fmac_f32_e32 v78, v190, v10
	v_fmac_f32_e32 v78, v191, v11
	;; [unrolled: 1-line block ×12, first 2 shown]
	ds_bpermute_b32 v74, v1, v78
	s_waitcnt lgkmcnt(0)
	v_add_f32_e32 v76, v78, v74
	v_lshlrev_b32_e32 v74, 2, v75
	ds_bpermute_b32 v75, v74, v76
	v_xor_b32_e32 v78, 4, v77
	v_cmp_lt_i32_e32 vcc, v78, v79
	v_cndmask_b32_e32 v78, v77, v78, vcc
	v_cmp_lt_i32_e32 vcc, v80, v79
	s_waitcnt lgkmcnt(0)
	v_add_f32_e32 v76, v76, v75
	v_lshlrev_b32_e32 v75, 2, v78
	ds_bpermute_b32 v78, v75, v76
	v_cndmask_b32_e32 v80, v77, v80, vcc
	v_cmp_lt_i32_e32 vcc, v81, v79
	v_cndmask_b32_e32 v77, v77, v81, vcc
	s_waitcnt lgkmcnt(0)
	v_add_f32_e32 v78, v76, v78
	v_lshlrev_b32_e32 v76, 2, v80
	ds_bpermute_b32 v80, v76, v78
	s_waitcnt lgkmcnt(0)
	v_add_f32_e32 v79, v78, v80
	v_lshlrev_b32_e32 v78, 2, v77
	ds_bpermute_b32 v80, v78, v79
	v_and_b32_e32 v77, 31, v0
	v_cmp_eq_u32_e32 vcc, 0, v77
	v_lshrrev_b32_e32 v77, 5, v0
	v_lshlrev_b32_e32 v77, 2, v77
	s_and_saveexec_b64 s[2:3], vcc
	s_cbranch_execz .LBB6_2
; %bb.1:
	s_waitcnt lgkmcnt(0)
	v_add_f32_e32 v79, v79, v80
	ds_write_b32 v77, v79
.LBB6_2:
	s_or_b64 exec, exec, s[2:3]
	s_waitcnt vmcnt(1)
	v_fma_f32 v79, v182, v2, 0
	v_fmac_f32_e32 v79, v183, v3
	v_fmac_f32_e32 v79, v184, v4
	v_fmac_f32_e32 v79, v185, v5
	v_fmac_f32_e32 v79, v170, v6
	v_fmac_f32_e32 v79, v171, v7
	v_fmac_f32_e32 v79, v172, v8
	v_fmac_f32_e32 v79, v173, v9
	v_fmac_f32_e32 v79, v178, v18
	v_fmac_f32_e32 v79, v179, v19
	v_fmac_f32_e32 v79, v180, v20
	v_fmac_f32_e32 v79, v181, v21
	v_fmac_f32_e32 v79, v174, v10
	v_fmac_f32_e32 v79, v175, v11
	v_fmac_f32_e32 v79, v176, v12
	v_fmac_f32_e32 v79, v177, v13
	v_fmac_f32_e32 v79, v114, v14
	v_fmac_f32_e32 v79, v115, v15
	v_fmac_f32_e32 v79, v116, v16
	v_fmac_f32_e32 v79, v117, v17
	v_fmac_f32_e32 v79, v166, v22
	v_fmac_f32_e32 v79, v167, v23
	v_fmac_f32_e32 v79, v168, v24
	v_fmac_f32_e32 v79, v169, v25
	s_waitcnt lgkmcnt(0)
	ds_bpermute_b32 v80, v1, v79
	s_waitcnt lgkmcnt(0)
	v_add_f32_e32 v79, v79, v80
	ds_bpermute_b32 v80, v74, v79
	s_waitcnt lgkmcnt(0)
	v_add_f32_e32 v79, v79, v80
	ds_bpermute_b32 v80, v75, v79
	s_waitcnt lgkmcnt(0)
	v_add_f32_e32 v79, v79, v80
	ds_bpermute_b32 v80, v76, v79
	s_waitcnt lgkmcnt(0)
	v_add_f32_e32 v79, v79, v80
	ds_bpermute_b32 v80, v78, v79
	s_and_saveexec_b64 s[2:3], vcc
	s_cbranch_execz .LBB6_4
; %bb.3:
	s_waitcnt lgkmcnt(0)
	v_add_f32_e32 v79, v79, v80
	ds_write_b32 v77, v79 offset:16
.LBB6_4:
	s_or_b64 exec, exec, s[2:3]
	v_fma_f32 v79, v162, v2, 0
	v_fmac_f32_e32 v79, v163, v3
	v_fmac_f32_e32 v79, v164, v4
	v_fmac_f32_e32 v79, v165, v5
	v_fmac_f32_e32 v79, v154, v6
	v_fmac_f32_e32 v79, v155, v7
	v_fmac_f32_e32 v79, v156, v8
	v_fmac_f32_e32 v79, v157, v9
	v_fmac_f32_e32 v79, v146, v18
	v_fmac_f32_e32 v79, v147, v19
	v_fmac_f32_e32 v79, v148, v20
	v_fmac_f32_e32 v79, v149, v21
	v_fmac_f32_e32 v79, v142, v10
	v_fmac_f32_e32 v79, v143, v11
	v_fmac_f32_e32 v79, v144, v12
	v_fmac_f32_e32 v79, v145, v13
	v_fmac_f32_e32 v79, v158, v14
	v_fmac_f32_e32 v79, v159, v15
	v_fmac_f32_e32 v79, v160, v16
	v_fmac_f32_e32 v79, v161, v17
	v_fmac_f32_e32 v79, v150, v22
	v_fmac_f32_e32 v79, v151, v23
	v_fmac_f32_e32 v79, v152, v24
	v_fmac_f32_e32 v79, v153, v25
	s_waitcnt lgkmcnt(0)
	ds_bpermute_b32 v80, v1, v79
	s_waitcnt lgkmcnt(0)
	v_add_f32_e32 v79, v79, v80
	ds_bpermute_b32 v80, v74, v79
	s_waitcnt lgkmcnt(0)
	v_add_f32_e32 v79, v79, v80
	ds_bpermute_b32 v80, v75, v79
	s_waitcnt lgkmcnt(0)
	v_add_f32_e32 v79, v79, v80
	ds_bpermute_b32 v80, v76, v79
	s_waitcnt lgkmcnt(0)
	v_add_f32_e32 v79, v79, v80
	ds_bpermute_b32 v80, v78, v79
	s_and_saveexec_b64 s[2:3], vcc
	s_cbranch_execz .LBB6_6
; %bb.5:
	s_waitcnt lgkmcnt(0)
	v_add_f32_e32 v79, v79, v80
	ds_write_b32 v77, v79 offset:32
.LBB6_6:
	s_or_b64 exec, exec, s[2:3]
	;; [unrolled: 46-line block ×4, first 2 shown]
	v_fma_f32 v70, v70, v2, 0
	v_fmac_f32_e32 v70, v71, v3
	v_fmac_f32_e32 v70, v72, v4
	v_fmac_f32_e32 v70, v73, v5
	v_fmac_f32_e32 v70, v50, v6
	v_fmac_f32_e32 v70, v51, v7
	v_fmac_f32_e32 v70, v52, v8
	v_fmac_f32_e32 v70, v53, v9
	v_fmac_f32_e32 v70, v66, v18
	v_fmac_f32_e32 v70, v67, v19
	v_fmac_f32_e32 v70, v68, v20
	v_fmac_f32_e32 v70, v69, v21
	v_fmac_f32_e32 v70, v58, v10
	v_fmac_f32_e32 v70, v59, v11
	v_fmac_f32_e32 v70, v60, v12
	v_fmac_f32_e32 v70, v61, v13
	v_fmac_f32_e32 v70, v62, v14
	v_fmac_f32_e32 v70, v63, v15
	v_fmac_f32_e32 v70, v64, v16
	v_fmac_f32_e32 v70, v65, v17
	v_fmac_f32_e32 v70, v54, v22
	v_fmac_f32_e32 v70, v55, v23
	v_fmac_f32_e32 v70, v56, v24
	v_fmac_f32_e32 v70, v57, v25
	ds_bpermute_b32 v50, v1, v70
	s_waitcnt lgkmcnt(0)
	v_add_f32_e32 v50, v70, v50
	ds_bpermute_b32 v51, v74, v50
	s_waitcnt lgkmcnt(0)
	v_add_f32_e32 v50, v50, v51
	;; [unrolled: 3-line block ×4, first 2 shown]
	ds_bpermute_b32 v51, v78, v50
	s_and_saveexec_b64 s[2:3], vcc
	s_cbranch_execz .LBB6_12
; %bb.11:
	s_waitcnt lgkmcnt(0)
	v_add_f32_e32 v50, v50, v51
	ds_write_b32 v77, v50 offset:80
.LBB6_12:
	s_or_b64 exec, exec, s[2:3]
	v_fma_f32 v2, v46, v2, 0
	v_fmac_f32_e32 v2, v47, v3
	v_fmac_f32_e32 v2, v48, v4
	v_fmac_f32_e32 v2, v49, v5
	v_fmac_f32_e32 v2, v26, v6
	v_fmac_f32_e32 v2, v27, v7
	v_fmac_f32_e32 v2, v28, v8
	v_fmac_f32_e32 v2, v29, v9
	v_fmac_f32_e32 v2, v42, v18
	v_fmac_f32_e32 v2, v43, v19
	v_fmac_f32_e32 v2, v44, v20
	v_fmac_f32_e32 v2, v45, v21
	v_fmac_f32_e32 v2, v30, v10
	v_fmac_f32_e32 v2, v31, v11
	v_fmac_f32_e32 v2, v32, v12
	v_fmac_f32_e32 v2, v33, v13
	v_fmac_f32_e32 v2, v38, v14
	v_fmac_f32_e32 v2, v39, v15
	v_fmac_f32_e32 v2, v40, v16
	v_fmac_f32_e32 v2, v41, v17
	s_waitcnt vmcnt(0)
	v_fmac_f32_e32 v2, v34, v22
	v_fmac_f32_e32 v2, v35, v23
	v_fmac_f32_e32 v2, v36, v24
	v_fmac_f32_e32 v2, v37, v25
	ds_bpermute_b32 v1, v1, v2
	s_waitcnt lgkmcnt(0)
	v_add_f32_e32 v1, v2, v1
	ds_bpermute_b32 v2, v74, v1
	s_waitcnt lgkmcnt(0)
	v_add_f32_e32 v1, v1, v2
	;; [unrolled: 3-line block ×4, first 2 shown]
	ds_bpermute_b32 v2, v78, v1
	s_and_saveexec_b64 s[2:3], vcc
	s_cbranch_execz .LBB6_14
; %bb.13:
	s_waitcnt lgkmcnt(0)
	v_add_f32_e32 v1, v1, v2
	ds_write_b32 v77, v1 offset:96
.LBB6_14:
	s_or_b64 exec, exec, s[2:3]
	v_cmp_eq_u32_e32 vcc, 0, v0
	s_waitcnt lgkmcnt(0)
	s_barrier
	s_and_saveexec_b64 s[2:3], vcc
	s_cbranch_execz .LBB6_16
; %bb.15:
	v_mov_b32_e32 v16, 0
	ds_read_b128 v[0:3], v16
	s_ashr_i32 s7, s6, 31
	ds_read_b128 v[4:7], v16 offset:16
	ds_read_b128 v[8:11], v16 offset:32
	;; [unrolled: 1-line block ×3, first 2 shown]
	s_lshl_b64 s[2:3], s[6:7], 2
	s_add_u32 s0, s0, s2
	s_waitcnt lgkmcnt(3)
	v_add_f32_e32 v0, 0, v0
	v_add_f32_e32 v0, v0, v1
	;; [unrolled: 1-line block ×4, first 2 shown]
	s_addc_u32 s1, s1, s3
	global_store_dword v16, v0, s[0:1]
	s_waitcnt lgkmcnt(2)
	v_add_f32_e32 v0, 0, v4
	v_add_f32_e32 v0, v0, v5
	;; [unrolled: 1-line block ×4, first 2 shown]
	global_store_dword v16, v0, s[0:1] offset:1024
	s_waitcnt lgkmcnt(1)
	v_add_f32_e32 v0, 0, v8
	v_add_f32_e32 v0, v0, v9
	;; [unrolled: 1-line block ×4, first 2 shown]
	global_store_dword v16, v0, s[0:1] offset:2048
	s_waitcnt lgkmcnt(0)
	v_add_f32_e32 v0, 0, v12
	v_add_f32_e32 v4, v0, v13
	ds_read_b128 v[0:3], v16 offset:64
	v_add_f32_e32 v4, v4, v14
	v_add_f32_e32 v4, v4, v15
	global_store_dword v16, v4, s[0:1] offset:3072
	ds_read_b128 v[4:7], v16 offset:80
	s_waitcnt lgkmcnt(1)
	v_add_f32_e32 v0, 0, v0
	v_add_f32_e32 v0, v0, v1
	;; [unrolled: 1-line block ×4, first 2 shown]
	v_mov_b32_e32 v8, 0x1000
	global_store_dword v8, v0, s[0:1]
	ds_read_b128 v[0:3], v16 offset:96
	s_waitcnt lgkmcnt(1)
	v_add_f32_e32 v4, 0, v4
	v_add_f32_e32 v4, v4, v5
	;; [unrolled: 1-line block ×4, first 2 shown]
	s_waitcnt lgkmcnt(0)
	v_add_f32_e32 v0, 0, v0
	v_add_f32_e32 v0, v0, v1
	;; [unrolled: 1-line block ×4, first 2 shown]
	global_store_dword v8, v4, s[0:1] offset:1024
	global_store_dword v8, v0, s[0:1] offset:2048
.LBB6_16:
	s_endpgm
	.section	.rodata,"a",@progbits
	.p2align	6, 0x0
	.amdhsa_kernel _Z23fp32_router_gemm_kernelIfLi128ELi7ELi256ELi3072EEvPfPKT_PKf
		.amdhsa_group_segment_fixed_size 112
		.amdhsa_private_segment_fixed_size 0
		.amdhsa_kernarg_size 24
		.amdhsa_user_sgpr_count 6
		.amdhsa_user_sgpr_private_segment_buffer 1
		.amdhsa_user_sgpr_dispatch_ptr 0
		.amdhsa_user_sgpr_queue_ptr 0
		.amdhsa_user_sgpr_kernarg_segment_ptr 1
		.amdhsa_user_sgpr_dispatch_id 0
		.amdhsa_user_sgpr_flat_scratch_init 0
		.amdhsa_user_sgpr_kernarg_preload_length 0
		.amdhsa_user_sgpr_kernarg_preload_offset 0
		.amdhsa_user_sgpr_private_segment_size 0
		.amdhsa_uses_dynamic_stack 0
		.amdhsa_system_sgpr_private_segment_wavefront_offset 0
		.amdhsa_system_sgpr_workgroup_id_x 1
		.amdhsa_system_sgpr_workgroup_id_y 0
		.amdhsa_system_sgpr_workgroup_id_z 0
		.amdhsa_system_sgpr_workgroup_info 0
		.amdhsa_system_vgpr_workitem_id 0
		.amdhsa_next_free_vgpr 196
		.amdhsa_next_free_sgpr 12
		.amdhsa_accum_offset 196
		.amdhsa_reserve_vcc 1
		.amdhsa_reserve_flat_scratch 0
		.amdhsa_float_round_mode_32 0
		.amdhsa_float_round_mode_16_64 0
		.amdhsa_float_denorm_mode_32 3
		.amdhsa_float_denorm_mode_16_64 3
		.amdhsa_dx10_clamp 1
		.amdhsa_ieee_mode 1
		.amdhsa_fp16_overflow 0
		.amdhsa_tg_split 0
		.amdhsa_exception_fp_ieee_invalid_op 0
		.amdhsa_exception_fp_denorm_src 0
		.amdhsa_exception_fp_ieee_div_zero 0
		.amdhsa_exception_fp_ieee_overflow 0
		.amdhsa_exception_fp_ieee_underflow 0
		.amdhsa_exception_fp_ieee_inexact 0
		.amdhsa_exception_int_div_zero 0
	.end_amdhsa_kernel
	.section	.text._Z23fp32_router_gemm_kernelIfLi128ELi7ELi256ELi3072EEvPfPKT_PKf,"axG",@progbits,_Z23fp32_router_gemm_kernelIfLi128ELi7ELi256ELi3072EEvPfPKT_PKf,comdat
.Lfunc_end6:
	.size	_Z23fp32_router_gemm_kernelIfLi128ELi7ELi256ELi3072EEvPfPKT_PKf, .Lfunc_end6-_Z23fp32_router_gemm_kernelIfLi128ELi7ELi256ELi3072EEvPfPKT_PKf
                                        ; -- End function
	.section	.AMDGPU.csdata,"",@progbits
; Kernel info:
; codeLenInByte = 2648
; NumSgprs: 16
; NumVgprs: 196
; NumAgprs: 0
; TotalNumVgprs: 196
; ScratchSize: 0
; MemoryBound: 0
; FloatMode: 240
; IeeeMode: 1
; LDSByteSize: 112 bytes/workgroup (compile time only)
; SGPRBlocks: 1
; VGPRBlocks: 24
; NumSGPRsForWavesPerEU: 16
; NumVGPRsForWavesPerEU: 196
; AccumOffset: 196
; Occupancy: 2
; WaveLimiterHint : 1
; COMPUTE_PGM_RSRC2:SCRATCH_EN: 0
; COMPUTE_PGM_RSRC2:USER_SGPR: 6
; COMPUTE_PGM_RSRC2:TRAP_HANDLER: 0
; COMPUTE_PGM_RSRC2:TGID_X_EN: 1
; COMPUTE_PGM_RSRC2:TGID_Y_EN: 0
; COMPUTE_PGM_RSRC2:TGID_Z_EN: 0
; COMPUTE_PGM_RSRC2:TIDIG_COMP_CNT: 0
; COMPUTE_PGM_RSRC3_GFX90A:ACCUM_OFFSET: 48
; COMPUTE_PGM_RSRC3_GFX90A:TG_SPLIT: 0
	.section	.text._Z23fp32_router_gemm_kernelIfLi128ELi8ELi256ELi3072EEvPfPKT_PKf,"axG",@progbits,_Z23fp32_router_gemm_kernelIfLi128ELi8ELi256ELi3072EEvPfPKT_PKf,comdat
	.protected	_Z23fp32_router_gemm_kernelIfLi128ELi8ELi256ELi3072EEvPfPKT_PKf ; -- Begin function _Z23fp32_router_gemm_kernelIfLi128ELi8ELi256ELi3072EEvPfPKT_PKf
	.globl	_Z23fp32_router_gemm_kernelIfLi128ELi8ELi256ELi3072EEvPfPKT_PKf
	.p2align	8
	.type	_Z23fp32_router_gemm_kernelIfLi128ELi8ELi256ELi3072EEvPfPKT_PKf,@function
_Z23fp32_router_gemm_kernelIfLi128ELi8ELi256ELi3072EEvPfPKT_PKf: ; @_Z23fp32_router_gemm_kernelIfLi128ELi8ELi256ELi3072EEvPfPKT_PKf
; %bb.0:
	s_load_dwordx2 s[8:9], s[4:5], 0x10
	s_load_dwordx4 s[0:3], s[4:5], 0x0
	s_mul_i32 s4, s6, 0xc00
	s_ashr_i32 s5, s4, 31
	s_lshl_b64 s[4:5], s[4:5], 2
	s_waitcnt lgkmcnt(0)
	s_add_u32 s4, s8, s4
	s_addc_u32 s5, s9, s5
	v_lshlrev_b32_e32 v1, 4, v0
	v_mov_b32_e32 v2, s5
	v_add_co_u32_e32 v10, vcc, s4, v1
	v_addc_co_u32_e32 v11, vcc, 0, v2, vcc
	v_mov_b32_e32 v2, s3
	v_add_co_u32_e32 v50, vcc, s2, v1
	v_addc_co_u32_e32 v51, vcc, 0, v2, vcc
	global_load_dwordx4 v[2:5], v1, s[4:5]
	global_load_dwordx4 v[6:9], v1, s[4:5] offset:2048
	global_load_dwordx4 v[98:101], v1, s[2:3]
	global_load_dwordx4 v[94:97], v1, s[2:3] offset:2048
	s_movk_i32 s3, 0x2000
	v_add_co_u32_e32 v26, vcc, s3, v10
	v_addc_co_u32_e32 v27, vcc, 0, v11, vcc
	v_add_co_u32_e32 v28, vcc, s3, v50
	s_movk_i32 s2, 0x1000
	v_addc_co_u32_e32 v29, vcc, 0, v51, vcc
	v_add_co_u32_e32 v22, vcc, s2, v10
	v_addc_co_u32_e32 v23, vcc, 0, v11, vcc
	v_add_co_u32_e32 v30, vcc, s2, v50
	v_addc_co_u32_e32 v31, vcc, 0, v51, vcc
	s_movk_i32 s2, 0x3000
	v_add_co_u32_e32 v32, vcc, s2, v50
	s_movk_i32 s3, 0x4000
	v_addc_co_u32_e32 v33, vcc, 0, v51, vcc
	v_add_co_u32_e32 v34, vcc, s3, v50
	s_movk_i32 s4, 0x6000
	v_addc_co_u32_e32 v35, vcc, 0, v51, vcc
	;; [unrolled: 3-line block ×3, first 2 shown]
	v_add_co_u32_e32 v38, vcc, s5, v50
	s_mov_b32 s7, 0x9000
	v_addc_co_u32_e32 v39, vcc, 0, v51, vcc
	v_add_co_u32_e32 v40, vcc, s7, v50
	s_mov_b32 s8, 0xa000
	v_addc_co_u32_e32 v41, vcc, 0, v51, vcc
	;; [unrolled: 3-line block ×3, first 2 shown]
	v_add_co_u32_e32 v44, vcc, s9, v50
	s_movk_i32 s11, 0x5000
	v_addc_co_u32_e32 v45, vcc, 0, v51, vcc
	v_add_co_u32_e32 v58, vcc, s11, v50
	s_mov_b32 s10, 0xd000
	v_addc_co_u32_e32 v59, vcc, 0, v51, vcc
	global_load_dwordx4 v[10:13], v[22:23], off offset:2048
	global_load_dwordx4 v[118:121], v[28:29], off offset:-4096
	global_load_dwordx4 v[130:133], v[28:29], off
	global_load_dwordx4 v[18:21], v[26:27], off offset:-4096
	global_load_dwordx4 v[14:17], v[26:27], off
	global_load_dwordx4 v[154:157], v[28:29], off offset:2048
	global_load_dwordx4 v[22:25], v[26:27], off offset:2048
	;; [unrolled: 1-line block ×3, first 2 shown]
	global_load_dwordx4 v[138:141], v[58:59], off
	v_add_co_u32_e32 v30, vcc, s10, v50
	v_addc_co_u32_e32 v31, vcc, 0, v51, vcc
	s_mov_b32 s2, 0xf000
	v_add_co_u32_e32 v46, vcc, s2, v50
	v_addc_co_u32_e32 v47, vcc, 0, v51, vcc
	s_mov_b32 s2, 0x10000
	;; [unrolled: 3-line block ×12, first 2 shown]
	v_add_co_u32_e32 v218, vcc, s2, v50
	v_addc_co_u32_e32 v219, vcc, 0, v51, vcc
	global_load_dwordx4 v[194:197], v[32:33], off offset:2048
	global_load_dwordx4 v[174:177], v[36:37], off offset:2048
	;; [unrolled: 1-line block ×7, first 2 shown]
	global_load_dwordx4 v[190:193], v[38:39], off offset:-4096
                                        ; kill: killed $vgpr40 killed $vgpr41
                                        ; kill: killed $vgpr36 killed $vgpr37
                                        ; kill: killed $vgpr32 killed $vgpr33
                                        ; kill: killed $vgpr60 killed $vgpr61
                                        ; kill: killed $vgpr54 killed $vgpr55
                                        ; kill: killed $vgpr46 killed $vgpr47
                                        ; kill: killed $vgpr44 killed $vgpr45
	global_load_dwordx4 v[182:185], v[38:39], off
	global_load_dwordx4 v[170:173], v[38:39], off offset:2048
	global_load_dwordx4 v[166:169], v[42:43], off offset:-4096
                                        ; kill: killed $vgpr38 killed $vgpr39
	global_load_dwordx4 v[158:161], v[42:43], off
	global_load_dwordx4 v[146:149], v[42:43], off offset:2048
	global_load_dwordx4 v[134:137], v[30:31], off offset:-4096
	global_load_dwordx4 v[122:125], v[30:31], off
	global_load_dwordx4 v[110:113], v[30:31], off offset:2048
	global_load_dwordx4 v[102:105], v[48:49], off offset:-4096
	;; [unrolled: 3-line block ×3, first 2 shown]
	global_load_dwordx4 v[66:69], v[56:57], off
	s_nop 0
	global_load_dwordx4 v[54:57], v[56:57], off offset:2048
	s_nop 0
	global_load_dwordx4 v[46:49], v[62:63], off offset:-4096
	global_load_dwordx4 v[38:41], v[62:63], off
	global_load_dwordx4 v[30:33], v[62:63], off offset:2048
	global_load_dwordx4 v[198:201], v[58:59], off offset:2048
	global_load_dwordx4 v[186:189], v[64:65], off
	global_load_dwordx4 v[178:181], v[64:65], off offset:2048
	global_load_dwordx4 v[162:165], v[78:79], off
	;; [unrolled: 2-line block ×4, first 2 shown]
	s_nop 0
	global_load_dwordx4 v[78:81], v[202:203], off offset:2048
	global_load_dwordx4 v[62:65], v[210:211], off
	global_load_dwordx4 v[206:209], v[34:35], off
	s_nop 0
	global_load_dwordx4 v[202:205], v[34:35], off offset:2048
	global_load_dwordx4 v[58:61], v[210:211], off offset:2048
	global_load_dwordx4 v[42:45], v[218:219], off
	s_nop 0
	global_load_dwordx4 v[210:213], v[34:35], off offset:-4096
	s_nop 0
	global_load_dwordx4 v[34:37], v[218:219], off offset:2048
	s_waitcnt vmcnt(51)
	v_fma_f32 v98, v98, v2, 0
	v_fmac_f32_e32 v98, v99, v3
	v_fmac_f32_e32 v98, v100, v4
	;; [unrolled: 1-line block ×3, first 2 shown]
	s_waitcnt vmcnt(50)
	v_fmac_f32_e32 v98, v94, v6
	v_fmac_f32_e32 v98, v95, v7
	;; [unrolled: 1-line block ×4, first 2 shown]
	v_mbcnt_lo_u32_b32 v1, -1, 0
	v_mbcnt_hi_u32_b32 v97, -1, v1
	v_and_b32_e32 v1, 64, v97
	s_waitcnt vmcnt(46)
	v_fmac_f32_e32 v98, v118, v18
	v_fmac_f32_e32 v98, v119, v19
	v_fmac_f32_e32 v98, v120, v20
	v_fmac_f32_e32 v98, v121, v21
	s_waitcnt vmcnt(42)
	v_fmac_f32_e32 v98, v214, v10
	v_fmac_f32_e32 v98, v215, v11
	;; [unrolled: 1-line block ×9, first 2 shown]
	v_add_u32_e32 v99, 64, v1
	v_xor_b32_e32 v1, 16, v97
	v_fmac_f32_e32 v98, v155, v23
	v_cmp_lt_i32_e32 vcc, v1, v99
	v_fmac_f32_e32 v98, v156, v24
	v_cndmask_b32_e32 v1, v97, v1, vcc
	v_fmac_f32_e32 v98, v157, v25
	v_lshlrev_b32_e32 v1, 2, v1
	ds_bpermute_b32 v94, v1, v98
	v_xor_b32_e32 v95, 8, v97
	v_cmp_lt_i32_e32 vcc, v95, v99
	v_cndmask_b32_e32 v95, v97, v95, vcc
	v_xor_b32_e32 v100, 2, v97
	s_waitcnt lgkmcnt(0)
	v_add_f32_e32 v96, v98, v94
	v_lshlrev_b32_e32 v94, 2, v95
	ds_bpermute_b32 v95, v94, v96
	v_xor_b32_e32 v98, 4, v97
	v_cmp_lt_i32_e32 vcc, v98, v99
	v_cndmask_b32_e32 v98, v97, v98, vcc
	v_cmp_lt_i32_e32 vcc, v100, v99
	s_waitcnt lgkmcnt(0)
	v_add_f32_e32 v96, v96, v95
	v_lshlrev_b32_e32 v95, 2, v98
	ds_bpermute_b32 v98, v95, v96
	v_cndmask_b32_e32 v100, v97, v100, vcc
	v_xor_b32_e32 v101, 1, v97
	v_cmp_lt_i32_e32 vcc, v101, v99
	v_cndmask_b32_e32 v97, v97, v101, vcc
	s_waitcnt lgkmcnt(0)
	v_add_f32_e32 v98, v96, v98
	v_lshlrev_b32_e32 v96, 2, v100
	ds_bpermute_b32 v100, v96, v98
	s_waitcnt lgkmcnt(0)
	v_add_f32_e32 v99, v98, v100
	v_lshlrev_b32_e32 v98, 2, v97
	ds_bpermute_b32 v100, v98, v99
	v_and_b32_e32 v97, 31, v0
	v_cmp_eq_u32_e32 vcc, 0, v97
	v_lshrrev_b32_e32 v97, 5, v0
	v_lshlrev_b32_e32 v97, 2, v97
	s_and_saveexec_b64 s[2:3], vcc
	s_cbranch_execz .LBB7_2
; %bb.1:
	s_waitcnt lgkmcnt(0)
	v_add_f32_e32 v99, v99, v100
	ds_write_b32 v97, v99
.LBB7_2:
	s_or_b64 exec, exec, s[2:3]
	s_waitcnt vmcnt(1)
	v_fma_f32 v99, v210, v2, 0
	v_fmac_f32_e32 v99, v211, v3
	v_fmac_f32_e32 v99, v212, v4
	v_fmac_f32_e32 v99, v213, v5
	v_fmac_f32_e32 v99, v194, v6
	v_fmac_f32_e32 v99, v195, v7
	v_fmac_f32_e32 v99, v196, v8
	v_fmac_f32_e32 v99, v197, v9
	v_fmac_f32_e32 v99, v206, v18
	v_fmac_f32_e32 v99, v207, v19
	v_fmac_f32_e32 v99, v208, v20
	v_fmac_f32_e32 v99, v209, v21
	v_fmac_f32_e32 v99, v202, v10
	v_fmac_f32_e32 v99, v203, v11
	v_fmac_f32_e32 v99, v204, v12
	v_fmac_f32_e32 v99, v205, v13
	v_fmac_f32_e32 v99, v138, v14
	v_fmac_f32_e32 v99, v139, v15
	v_fmac_f32_e32 v99, v140, v16
	v_fmac_f32_e32 v99, v141, v17
	v_fmac_f32_e32 v99, v198, v22
	v_fmac_f32_e32 v99, v199, v23
	v_fmac_f32_e32 v99, v200, v24
	v_fmac_f32_e32 v99, v201, v25
	s_waitcnt lgkmcnt(0)
	ds_bpermute_b32 v100, v1, v99
	s_waitcnt lgkmcnt(0)
	v_add_f32_e32 v99, v99, v100
	ds_bpermute_b32 v100, v94, v99
	s_waitcnt lgkmcnt(0)
	v_add_f32_e32 v99, v99, v100
	ds_bpermute_b32 v100, v95, v99
	s_waitcnt lgkmcnt(0)
	v_add_f32_e32 v99, v99, v100
	ds_bpermute_b32 v100, v96, v99
	s_waitcnt lgkmcnt(0)
	v_add_f32_e32 v99, v99, v100
	ds_bpermute_b32 v100, v98, v99
	s_and_saveexec_b64 s[2:3], vcc
	s_cbranch_execz .LBB7_4
; %bb.3:
	s_waitcnt lgkmcnt(0)
	v_add_f32_e32 v99, v99, v100
	ds_write_b32 v97, v99 offset:16
.LBB7_4:
	s_or_b64 exec, exec, s[2:3]
	v_fma_f32 v99, v190, v2, 0
	v_fmac_f32_e32 v99, v191, v3
	v_fmac_f32_e32 v99, v192, v4
	v_fmac_f32_e32 v99, v193, v5
	v_fmac_f32_e32 v99, v174, v6
	v_fmac_f32_e32 v99, v175, v7
	v_fmac_f32_e32 v99, v176, v8
	v_fmac_f32_e32 v99, v177, v9
	v_fmac_f32_e32 v99, v182, v18
	v_fmac_f32_e32 v99, v183, v19
	v_fmac_f32_e32 v99, v184, v20
	v_fmac_f32_e32 v99, v185, v21
	v_fmac_f32_e32 v99, v170, v10
	v_fmac_f32_e32 v99, v171, v11
	v_fmac_f32_e32 v99, v172, v12
	v_fmac_f32_e32 v99, v173, v13
	v_fmac_f32_e32 v99, v186, v14
	v_fmac_f32_e32 v99, v187, v15
	v_fmac_f32_e32 v99, v188, v16
	v_fmac_f32_e32 v99, v189, v17
	v_fmac_f32_e32 v99, v178, v22
	v_fmac_f32_e32 v99, v179, v23
	v_fmac_f32_e32 v99, v180, v24
	v_fmac_f32_e32 v99, v181, v25
	s_waitcnt lgkmcnt(0)
	ds_bpermute_b32 v100, v1, v99
	s_waitcnt lgkmcnt(0)
	v_add_f32_e32 v99, v99, v100
	ds_bpermute_b32 v100, v94, v99
	s_waitcnt lgkmcnt(0)
	v_add_f32_e32 v99, v99, v100
	ds_bpermute_b32 v100, v95, v99
	s_waitcnt lgkmcnt(0)
	v_add_f32_e32 v99, v99, v100
	ds_bpermute_b32 v100, v96, v99
	s_waitcnt lgkmcnt(0)
	v_add_f32_e32 v99, v99, v100
	ds_bpermute_b32 v100, v98, v99
	s_and_saveexec_b64 s[2:3], vcc
	s_cbranch_execz .LBB7_6
; %bb.5:
	s_waitcnt lgkmcnt(0)
	v_add_f32_e32 v99, v99, v100
	ds_write_b32 v97, v99 offset:32
.LBB7_6:
	s_or_b64 exec, exec, s[2:3]
	;; [unrolled: 46-line block ×4, first 2 shown]
	v_fma_f32 v99, v102, v2, 0
	v_fmac_f32_e32 v99, v103, v3
	v_fmac_f32_e32 v99, v104, v4
	;; [unrolled: 1-line block ×23, first 2 shown]
	ds_bpermute_b32 v74, v1, v99
	s_waitcnt lgkmcnt(0)
	v_add_f32_e32 v74, v99, v74
	ds_bpermute_b32 v75, v94, v74
	s_waitcnt lgkmcnt(0)
	v_add_f32_e32 v74, v74, v75
	;; [unrolled: 3-line block ×4, first 2 shown]
	ds_bpermute_b32 v75, v98, v74
	s_and_saveexec_b64 s[2:3], vcc
	s_cbranch_execz .LBB7_12
; %bb.11:
	s_waitcnt lgkmcnt(0)
	v_add_f32_e32 v74, v74, v75
	ds_write_b32 v97, v74 offset:80
.LBB7_12:
	s_or_b64 exec, exec, s[2:3]
	v_fma_f32 v70, v70, v2, 0
	v_fmac_f32_e32 v70, v71, v3
	v_fmac_f32_e32 v70, v72, v4
	;; [unrolled: 1-line block ×23, first 2 shown]
	ds_bpermute_b32 v50, v1, v70
	s_waitcnt lgkmcnt(0)
	v_add_f32_e32 v50, v70, v50
	ds_bpermute_b32 v51, v94, v50
	s_waitcnt lgkmcnt(0)
	v_add_f32_e32 v50, v50, v51
	;; [unrolled: 3-line block ×4, first 2 shown]
	ds_bpermute_b32 v51, v98, v50
	s_and_saveexec_b64 s[2:3], vcc
	s_cbranch_execz .LBB7_14
; %bb.13:
	s_waitcnt lgkmcnt(0)
	v_add_f32_e32 v50, v50, v51
	ds_write_b32 v97, v50 offset:96
.LBB7_14:
	s_or_b64 exec, exec, s[2:3]
	v_fma_f32 v2, v46, v2, 0
	v_fmac_f32_e32 v2, v47, v3
	v_fmac_f32_e32 v2, v48, v4
	;; [unrolled: 1-line block ×19, first 2 shown]
	s_waitcnt vmcnt(0)
	v_fmac_f32_e32 v2, v34, v22
	v_fmac_f32_e32 v2, v35, v23
	;; [unrolled: 1-line block ×4, first 2 shown]
	ds_bpermute_b32 v1, v1, v2
	s_waitcnt lgkmcnt(0)
	v_add_f32_e32 v1, v2, v1
	ds_bpermute_b32 v2, v94, v1
	s_waitcnt lgkmcnt(0)
	v_add_f32_e32 v1, v1, v2
	;; [unrolled: 3-line block ×4, first 2 shown]
	ds_bpermute_b32 v2, v98, v1
	s_and_saveexec_b64 s[2:3], vcc
	s_cbranch_execz .LBB7_16
; %bb.15:
	s_waitcnt lgkmcnt(0)
	v_add_f32_e32 v1, v1, v2
	ds_write_b32 v97, v1 offset:112
.LBB7_16:
	s_or_b64 exec, exec, s[2:3]
	v_cmp_eq_u32_e32 vcc, 0, v0
	s_waitcnt lgkmcnt(0)
	s_barrier
	s_and_saveexec_b64 s[2:3], vcc
	s_cbranch_execz .LBB7_18
; %bb.17:
	v_mov_b32_e32 v16, 0
	ds_read_b128 v[0:3], v16
	s_ashr_i32 s7, s6, 31
	ds_read_b128 v[4:7], v16 offset:16
	ds_read_b128 v[8:11], v16 offset:32
	;; [unrolled: 1-line block ×3, first 2 shown]
	s_lshl_b64 s[2:3], s[6:7], 2
	s_add_u32 s0, s0, s2
	s_waitcnt lgkmcnt(3)
	v_add_f32_e32 v0, 0, v0
	v_add_f32_e32 v0, v0, v1
	;; [unrolled: 1-line block ×4, first 2 shown]
	s_addc_u32 s1, s1, s3
	global_store_dword v16, v0, s[0:1]
	s_waitcnt lgkmcnt(2)
	v_add_f32_e32 v0, 0, v4
	v_add_f32_e32 v0, v0, v5
	;; [unrolled: 1-line block ×4, first 2 shown]
	global_store_dword v16, v0, s[0:1] offset:1024
	s_waitcnt lgkmcnt(1)
	v_add_f32_e32 v0, 0, v8
	v_add_f32_e32 v0, v0, v9
	;; [unrolled: 1-line block ×4, first 2 shown]
	global_store_dword v16, v0, s[0:1] offset:2048
	s_waitcnt lgkmcnt(0)
	v_add_f32_e32 v0, 0, v12
	v_add_f32_e32 v4, v0, v13
	ds_read_b128 v[0:3], v16 offset:64
	v_add_f32_e32 v4, v4, v14
	v_add_f32_e32 v4, v4, v15
	global_store_dword v16, v4, s[0:1] offset:3072
	ds_read_b128 v[4:7], v16 offset:80
	s_waitcnt lgkmcnt(1)
	v_add_f32_e32 v0, 0, v0
	v_add_f32_e32 v0, v0, v1
	;; [unrolled: 1-line block ×4, first 2 shown]
	v_mov_b32_e32 v8, 0x1000
	global_store_dword v8, v0, s[0:1]
	s_waitcnt lgkmcnt(0)
	v_add_f32_e32 v0, 0, v4
	v_add_f32_e32 v4, v0, v5
	ds_read_b128 v[0:3], v16 offset:96
	v_add_f32_e32 v4, v4, v6
	v_add_f32_e32 v4, v4, v7
	global_store_dword v8, v4, s[0:1] offset:1024
	ds_read_b128 v[4:7], v16 offset:112
	s_waitcnt lgkmcnt(1)
	v_add_f32_e32 v0, 0, v0
	v_add_f32_e32 v0, v0, v1
	;; [unrolled: 1-line block ×4, first 2 shown]
	global_store_dword v8, v0, s[0:1] offset:2048
	s_waitcnt lgkmcnt(0)
	v_add_f32_e32 v0, 0, v4
	v_add_f32_e32 v0, v0, v5
	v_add_f32_e32 v0, v0, v6
	v_add_f32_e32 v0, v0, v7
	global_store_dword v8, v0, s[0:1] offset:3072
.LBB7_18:
	s_endpgm
	.section	.rodata,"a",@progbits
	.p2align	6, 0x0
	.amdhsa_kernel _Z23fp32_router_gemm_kernelIfLi128ELi8ELi256ELi3072EEvPfPKT_PKf
		.amdhsa_group_segment_fixed_size 128
		.amdhsa_private_segment_fixed_size 0
		.amdhsa_kernarg_size 24
		.amdhsa_user_sgpr_count 6
		.amdhsa_user_sgpr_private_segment_buffer 1
		.amdhsa_user_sgpr_dispatch_ptr 0
		.amdhsa_user_sgpr_queue_ptr 0
		.amdhsa_user_sgpr_kernarg_segment_ptr 1
		.amdhsa_user_sgpr_dispatch_id 0
		.amdhsa_user_sgpr_flat_scratch_init 0
		.amdhsa_user_sgpr_kernarg_preload_length 0
		.amdhsa_user_sgpr_kernarg_preload_offset 0
		.amdhsa_user_sgpr_private_segment_size 0
		.amdhsa_uses_dynamic_stack 0
		.amdhsa_system_sgpr_private_segment_wavefront_offset 0
		.amdhsa_system_sgpr_workgroup_id_x 1
		.amdhsa_system_sgpr_workgroup_id_y 0
		.amdhsa_system_sgpr_workgroup_id_z 0
		.amdhsa_system_sgpr_workgroup_info 0
		.amdhsa_system_vgpr_workitem_id 0
		.amdhsa_next_free_vgpr 220
		.amdhsa_next_free_sgpr 12
		.amdhsa_accum_offset 220
		.amdhsa_reserve_vcc 1
		.amdhsa_reserve_flat_scratch 0
		.amdhsa_float_round_mode_32 0
		.amdhsa_float_round_mode_16_64 0
		.amdhsa_float_denorm_mode_32 3
		.amdhsa_float_denorm_mode_16_64 3
		.amdhsa_dx10_clamp 1
		.amdhsa_ieee_mode 1
		.amdhsa_fp16_overflow 0
		.amdhsa_tg_split 0
		.amdhsa_exception_fp_ieee_invalid_op 0
		.amdhsa_exception_fp_denorm_src 0
		.amdhsa_exception_fp_ieee_div_zero 0
		.amdhsa_exception_fp_ieee_overflow 0
		.amdhsa_exception_fp_ieee_underflow 0
		.amdhsa_exception_fp_ieee_inexact 0
		.amdhsa_exception_int_div_zero 0
	.end_amdhsa_kernel
	.section	.text._Z23fp32_router_gemm_kernelIfLi128ELi8ELi256ELi3072EEvPfPKT_PKf,"axG",@progbits,_Z23fp32_router_gemm_kernelIfLi128ELi8ELi256ELi3072EEvPfPKT_PKf,comdat
.Lfunc_end7:
	.size	_Z23fp32_router_gemm_kernelIfLi128ELi8ELi256ELi3072EEvPfPKT_PKf, .Lfunc_end7-_Z23fp32_router_gemm_kernelIfLi128ELi8ELi256ELi3072EEvPfPKT_PKf
                                        ; -- End function
	.section	.AMDGPU.csdata,"",@progbits
; Kernel info:
; codeLenInByte = 2984
; NumSgprs: 16
; NumVgprs: 220
; NumAgprs: 0
; TotalNumVgprs: 220
; ScratchSize: 0
; MemoryBound: 0
; FloatMode: 240
; IeeeMode: 1
; LDSByteSize: 128 bytes/workgroup (compile time only)
; SGPRBlocks: 1
; VGPRBlocks: 27
; NumSGPRsForWavesPerEU: 16
; NumVGPRsForWavesPerEU: 220
; AccumOffset: 220
; Occupancy: 2
; WaveLimiterHint : 1
; COMPUTE_PGM_RSRC2:SCRATCH_EN: 0
; COMPUTE_PGM_RSRC2:USER_SGPR: 6
; COMPUTE_PGM_RSRC2:TRAP_HANDLER: 0
; COMPUTE_PGM_RSRC2:TGID_X_EN: 1
; COMPUTE_PGM_RSRC2:TGID_Y_EN: 0
; COMPUTE_PGM_RSRC2:TGID_Z_EN: 0
; COMPUTE_PGM_RSRC2:TIDIG_COMP_CNT: 0
; COMPUTE_PGM_RSRC3_GFX90A:ACCUM_OFFSET: 54
; COMPUTE_PGM_RSRC3_GFX90A:TG_SPLIT: 0
	.section	.text._Z23fp32_router_gemm_kernelIfLi128ELi9ELi256ELi3072EEvPfPKT_PKf,"axG",@progbits,_Z23fp32_router_gemm_kernelIfLi128ELi9ELi256ELi3072EEvPfPKT_PKf,comdat
	.protected	_Z23fp32_router_gemm_kernelIfLi128ELi9ELi256ELi3072EEvPfPKT_PKf ; -- Begin function _Z23fp32_router_gemm_kernelIfLi128ELi9ELi256ELi3072EEvPfPKT_PKf
	.globl	_Z23fp32_router_gemm_kernelIfLi128ELi9ELi256ELi3072EEvPfPKT_PKf
	.p2align	8
	.type	_Z23fp32_router_gemm_kernelIfLi128ELi9ELi256ELi3072EEvPfPKT_PKf,@function
_Z23fp32_router_gemm_kernelIfLi128ELi9ELi256ELi3072EEvPfPKT_PKf: ; @_Z23fp32_router_gemm_kernelIfLi128ELi9ELi256ELi3072EEvPfPKT_PKf
; %bb.0:
	s_load_dwordx4 s[0:3], s[4:5], 0x0
	s_load_dwordx2 s[8:9], s[4:5], 0x10
	s_mul_i32 s4, s6, 0xc00
	s_ashr_i32 s5, s4, 31
	s_lshl_b64 s[4:5], s[4:5], 2
	v_lshlrev_b32_e32 v2, 2, v0
	s_waitcnt lgkmcnt(0)
	s_add_u32 s4, s8, s4
	v_or_b32_e32 v1, 0x200, v2
	v_or_b32_e32 v4, 0x400, v2
	;; [unrolled: 1-line block ×5, first 2 shown]
	s_addc_u32 s5, s9, s5
	s_mov_b64 s[8:9], 0
	v_mov_b32_e32 v15, 0
	v_mov_b32_e32 v16, s3
	s_movk_i32 s7, 0x3000
	s_movk_i32 s10, 0x6000
	s_mov_b32 s11, 0x9000
	s_mov_b32 s12, 0xc000
	;; [unrolled: 1-line block ×6, first 2 shown]
	v_mov_b32_e32 v14, 0
	v_mov_b32_e32 v13, 0
	;; [unrolled: 1-line block ×8, first 2 shown]
.LBB8_1:                                ; =>This Inner Loop Header: Depth=1
	s_cmp_eq_u32 s8, 1
	s_cselect_b64 vcc, -1, 0
	s_cmp_eq_u32 s8, 2
	v_cndmask_b32_e32 v17, v2, v1, vcc
	s_cselect_b64 vcc, -1, 0
	s_cmp_eq_u32 s8, 3
	v_cndmask_b32_e32 v17, v17, v4, vcc
	;; [unrolled: 3-line block ×4, first 2 shown]
	s_cselect_b64 vcc, -1, 0
	v_cndmask_b32_e32 v17, v17, v5, vcc
	v_lshlrev_b32_e32 v17, 2, v17
	global_load_dwordx4 v[18:21], v17, s[2:3]
	global_load_dwordx4 v[22:25], v17, s[4:5]
	v_add_co_u32_e32 v17, vcc, s2, v17
	v_addc_co_u32_e32 v34, vcc, 0, v16, vcc
	v_add_co_u32_e32 v30, vcc, s7, v17
	v_addc_co_u32_e32 v31, vcc, 0, v34, vcc
	;; [unrolled: 2-line block ×3, first 2 shown]
	s_add_u32 s8, s8, 1
	s_addc_u32 s9, s9, 0
	s_cmp_eq_u32 s8, 6
	s_waitcnt vmcnt(0)
	v_fmac_f32_e32 v15, v18, v22
	v_fmac_f32_e32 v15, v19, v23
	;; [unrolled: 1-line block ×4, first 2 shown]
	global_load_dwordx4 v[18:21], v[30:31], off
	global_load_dwordx4 v[26:29], v[32:33], off
	v_add_co_u32_e32 v30, vcc, s11, v17
	v_addc_co_u32_e32 v31, vcc, 0, v34, vcc
	v_add_co_u32_e32 v32, vcc, s12, v17
	v_addc_co_u32_e32 v33, vcc, 0, v34, vcc
	s_waitcnt vmcnt(1)
	v_fmac_f32_e32 v14, v18, v22
	s_waitcnt vmcnt(0)
	v_fmac_f32_e32 v13, v26, v22
	v_fmac_f32_e32 v14, v19, v23
	;; [unrolled: 1-line block ×7, first 2 shown]
	global_load_dwordx4 v[18:21], v[30:31], off
	global_load_dwordx4 v[26:29], v[32:33], off
	v_add_co_u32_e32 v30, vcc, s13, v17
	v_addc_co_u32_e32 v31, vcc, 0, v34, vcc
	v_add_co_u32_e32 v32, vcc, s14, v17
	v_addc_co_u32_e32 v33, vcc, 0, v34, vcc
	s_waitcnt vmcnt(1)
	v_fmac_f32_e32 v12, v18, v22
	s_waitcnt vmcnt(0)
	v_fmac_f32_e32 v11, v26, v22
	v_fmac_f32_e32 v12, v19, v23
	;; [unrolled: 1-line block ×7, first 2 shown]
	global_load_dwordx4 v[18:21], v[30:31], off
	global_load_dwordx4 v[26:29], v[32:33], off
	s_waitcnt vmcnt(1)
	v_fmac_f32_e32 v10, v18, v22
	v_fmac_f32_e32 v10, v19, v23
	v_add_co_u32_e32 v18, vcc, s16, v17
	v_fmac_f32_e32 v10, v20, v24
	v_addc_co_u32_e32 v19, vcc, 0, v34, vcc
	v_fmac_f32_e32 v10, v21, v25
	global_load_dwordx4 v[18:21], v[18:19], off
	s_waitcnt vmcnt(1)
	v_fmac_f32_e32 v9, v26, v22
	v_fmac_f32_e32 v9, v27, v23
	;; [unrolled: 1-line block ×4, first 2 shown]
	s_waitcnt vmcnt(0)
	v_pk_mul_f32 v[18:19], v[18:19], v[22:23]
	v_pk_mul_f32 v[30:31], v[20:21], v[24:25]
	v_add_co_u32_e32 v20, vcc, s15, v17
	v_addc_co_u32_e32 v21, vcc, 0, v34, vcc
	v_add_f32_e32 v8, v8, v18
	v_add_f32_e32 v8, v8, v19
	global_load_dwordx4 v[18:21], v[20:21], off
	v_add_f32_e32 v8, v8, v30
	v_add_f32_e32 v8, v8, v31
	s_waitcnt vmcnt(0)
	v_fmac_f32_e32 v7, v18, v22
	v_fmac_f32_e32 v7, v19, v23
	;; [unrolled: 1-line block ×4, first 2 shown]
	s_cbranch_scc0 .LBB8_1
; %bb.2:
	v_mbcnt_lo_u32_b32 v1, -1, 0
	v_mbcnt_hi_u32_b32 v5, -1, v1
	v_and_b32_e32 v2, 64, v5
	v_xor_b32_e32 v1, 16, v5
	v_add_u32_e32 v6, 64, v2
	v_cmp_lt_i32_e32 vcc, v1, v6
	v_cndmask_b32_e32 v1, v5, v1, vcc
	v_lshlrev_b32_e32 v1, 2, v1
	ds_bpermute_b32 v3, v1, v15
	v_xor_b32_e32 v2, 8, v5
	v_cmp_lt_i32_e32 vcc, v2, v6
	v_cndmask_b32_e32 v2, v5, v2, vcc
	v_lshlrev_b32_e32 v2, 2, v2
	s_waitcnt lgkmcnt(0)
	v_add_f32_e32 v4, v15, v3
	ds_bpermute_b32 v15, v2, v4
	v_xor_b32_e32 v3, 4, v5
	v_cmp_lt_i32_e32 vcc, v3, v6
	v_cndmask_b32_e32 v3, v5, v3, vcc
	v_lshlrev_b32_e32 v3, 2, v3
	s_waitcnt lgkmcnt(0)
	v_add_f32_e32 v15, v4, v15
	;; [unrolled: 7-line block ×4, first 2 shown]
	ds_bpermute_b32 v16, v6, v15
	v_lshrrev_b32_e32 v5, 5, v0
	v_and_b32_e32 v17, 31, v0
	v_cmp_eq_u32_e32 vcc, 0, v17
	v_lshlrev_b32_e32 v5, 2, v5
	s_and_saveexec_b64 s[2:3], vcc
	s_cbranch_execz .LBB8_4
; %bb.3:
	s_waitcnt lgkmcnt(0)
	v_add_f32_e32 v15, v15, v16
	ds_write_b32 v5, v15
.LBB8_4:
	s_or_b64 exec, exec, s[2:3]
	ds_bpermute_b32 v15, v1, v14
	s_waitcnt lgkmcnt(0)
	v_add_f32_e32 v14, v14, v15
	ds_bpermute_b32 v15, v2, v14
	s_waitcnt lgkmcnt(0)
	v_add_f32_e32 v14, v14, v15
	ds_bpermute_b32 v15, v3, v14
	s_waitcnt lgkmcnt(0)
	v_add_f32_e32 v14, v14, v15
	ds_bpermute_b32 v15, v4, v14
	s_waitcnt lgkmcnt(0)
	v_add_f32_e32 v14, v14, v15
	ds_bpermute_b32 v15, v6, v14
	s_and_saveexec_b64 s[2:3], vcc
	s_cbranch_execz .LBB8_6
; %bb.5:
	s_waitcnt lgkmcnt(0)
	v_add_f32_e32 v14, v14, v15
	ds_write_b32 v5, v14 offset:16
.LBB8_6:
	s_or_b64 exec, exec, s[2:3]
	ds_bpermute_b32 v14, v1, v13
	s_waitcnt lgkmcnt(0)
	v_add_f32_e32 v13, v13, v14
	ds_bpermute_b32 v14, v2, v13
	s_waitcnt lgkmcnt(0)
	v_add_f32_e32 v13, v13, v14
	ds_bpermute_b32 v14, v3, v13
	s_waitcnt lgkmcnt(0)
	v_add_f32_e32 v13, v13, v14
	ds_bpermute_b32 v14, v4, v13
	s_waitcnt lgkmcnt(0)
	v_add_f32_e32 v13, v13, v14
	ds_bpermute_b32 v14, v6, v13
	s_and_saveexec_b64 s[2:3], vcc
	s_cbranch_execz .LBB8_8
; %bb.7:
	s_waitcnt lgkmcnt(0)
	v_add_f32_e32 v13, v13, v14
	ds_write_b32 v5, v13 offset:32
.LBB8_8:
	;; [unrolled: 21-line block ×8, first 2 shown]
	s_or_b64 exec, exec, s[2:3]
	v_cmp_eq_u32_e32 vcc, 0, v0
	s_waitcnt lgkmcnt(0)
	s_barrier
	s_and_saveexec_b64 s[2:3], vcc
	s_cbranch_execz .LBB8_22
; %bb.21:
	v_mov_b32_e32 v16, 0
	ds_read_b128 v[0:3], v16
	s_ashr_i32 s7, s6, 31
	ds_read_b128 v[4:7], v16 offset:16
	ds_read_b128 v[8:11], v16 offset:32
	;; [unrolled: 1-line block ×3, first 2 shown]
	s_lshl_b64 s[2:3], s[6:7], 2
	s_add_u32 s0, s0, s2
	s_waitcnt lgkmcnt(3)
	v_add_f32_e32 v0, 0, v0
	v_add_f32_e32 v0, v0, v1
	;; [unrolled: 1-line block ×4, first 2 shown]
	s_addc_u32 s1, s1, s3
	global_store_dword v16, v0, s[0:1]
	s_waitcnt lgkmcnt(2)
	v_add_f32_e32 v0, 0, v4
	v_add_f32_e32 v0, v0, v5
	v_add_f32_e32 v0, v0, v6
	v_add_f32_e32 v0, v0, v7
	global_store_dword v16, v0, s[0:1] offset:1024
	s_waitcnt lgkmcnt(1)
	v_add_f32_e32 v0, 0, v8
	v_add_f32_e32 v0, v0, v9
	;; [unrolled: 1-line block ×4, first 2 shown]
	global_store_dword v16, v0, s[0:1] offset:2048
	s_waitcnt lgkmcnt(0)
	v_add_f32_e32 v0, 0, v12
	v_add_f32_e32 v4, v0, v13
	ds_read_b128 v[0:3], v16 offset:64
	v_add_f32_e32 v4, v4, v14
	v_add_f32_e32 v4, v4, v15
	global_store_dword v16, v4, s[0:1] offset:3072
	ds_read_b128 v[4:7], v16 offset:80
	s_waitcnt lgkmcnt(1)
	v_add_f32_e32 v0, 0, v0
	v_add_f32_e32 v0, v0, v1
	v_add_f32_e32 v0, v0, v2
	v_add_f32_e32 v0, v0, v3
	v_mov_b32_e32 v8, 0x1000
	global_store_dword v8, v0, s[0:1]
	s_waitcnt lgkmcnt(0)
	v_add_f32_e32 v0, 0, v4
	v_add_f32_e32 v4, v0, v5
	ds_read_b128 v[0:3], v16 offset:96
	v_add_f32_e32 v4, v4, v6
	v_add_f32_e32 v4, v4, v7
	global_store_dword v8, v4, s[0:1] offset:1024
	ds_read_b128 v[4:7], v16 offset:112
	s_waitcnt lgkmcnt(1)
	v_add_f32_e32 v0, 0, v0
	v_add_f32_e32 v0, v0, v1
	v_add_f32_e32 v0, v0, v2
	v_add_f32_e32 v0, v0, v3
	global_store_dword v8, v0, s[0:1] offset:2048
	ds_read_b128 v[0:3], v16 offset:128
	s_waitcnt lgkmcnt(1)
	v_add_f32_e32 v4, 0, v4
	v_add_f32_e32 v4, v4, v5
	v_add_f32_e32 v4, v4, v6
	v_add_f32_e32 v4, v4, v7
	s_waitcnt lgkmcnt(0)
	v_add_f32_e32 v0, 0, v0
	v_add_f32_e32 v0, v0, v1
	;; [unrolled: 1-line block ×4, first 2 shown]
	v_mov_b32_e32 v1, 0x2000
	global_store_dword v8, v4, s[0:1] offset:3072
	global_store_dword v1, v0, s[0:1]
.LBB8_22:
	s_endpgm
	.section	.rodata,"a",@progbits
	.p2align	6, 0x0
	.amdhsa_kernel _Z23fp32_router_gemm_kernelIfLi128ELi9ELi256ELi3072EEvPfPKT_PKf
		.amdhsa_group_segment_fixed_size 144
		.amdhsa_private_segment_fixed_size 0
		.amdhsa_kernarg_size 24
		.amdhsa_user_sgpr_count 6
		.amdhsa_user_sgpr_private_segment_buffer 1
		.amdhsa_user_sgpr_dispatch_ptr 0
		.amdhsa_user_sgpr_queue_ptr 0
		.amdhsa_user_sgpr_kernarg_segment_ptr 1
		.amdhsa_user_sgpr_dispatch_id 0
		.amdhsa_user_sgpr_flat_scratch_init 0
		.amdhsa_user_sgpr_kernarg_preload_length 0
		.amdhsa_user_sgpr_kernarg_preload_offset 0
		.amdhsa_user_sgpr_private_segment_size 0
		.amdhsa_uses_dynamic_stack 0
		.amdhsa_system_sgpr_private_segment_wavefront_offset 0
		.amdhsa_system_sgpr_workgroup_id_x 1
		.amdhsa_system_sgpr_workgroup_id_y 0
		.amdhsa_system_sgpr_workgroup_id_z 0
		.amdhsa_system_sgpr_workgroup_info 0
		.amdhsa_system_vgpr_workitem_id 0
		.amdhsa_next_free_vgpr 35
		.amdhsa_next_free_sgpr 17
		.amdhsa_accum_offset 36
		.amdhsa_reserve_vcc 1
		.amdhsa_reserve_flat_scratch 0
		.amdhsa_float_round_mode_32 0
		.amdhsa_float_round_mode_16_64 0
		.amdhsa_float_denorm_mode_32 3
		.amdhsa_float_denorm_mode_16_64 3
		.amdhsa_dx10_clamp 1
		.amdhsa_ieee_mode 1
		.amdhsa_fp16_overflow 0
		.amdhsa_tg_split 0
		.amdhsa_exception_fp_ieee_invalid_op 0
		.amdhsa_exception_fp_denorm_src 0
		.amdhsa_exception_fp_ieee_div_zero 0
		.amdhsa_exception_fp_ieee_overflow 0
		.amdhsa_exception_fp_ieee_underflow 0
		.amdhsa_exception_fp_ieee_inexact 0
		.amdhsa_exception_int_div_zero 0
	.end_amdhsa_kernel
	.section	.text._Z23fp32_router_gemm_kernelIfLi128ELi9ELi256ELi3072EEvPfPKT_PKf,"axG",@progbits,_Z23fp32_router_gemm_kernelIfLi128ELi9ELi256ELi3072EEvPfPKT_PKf,comdat
.Lfunc_end8:
	.size	_Z23fp32_router_gemm_kernelIfLi128ELi9ELi256ELi3072EEvPfPKT_PKf, .Lfunc_end8-_Z23fp32_router_gemm_kernelIfLi128ELi9ELi256ELi3072EEvPfPKT_PKf
                                        ; -- End function
	.section	.AMDGPU.csdata,"",@progbits
; Kernel info:
; codeLenInByte = 2020
; NumSgprs: 21
; NumVgprs: 35
; NumAgprs: 0
; TotalNumVgprs: 35
; ScratchSize: 0
; MemoryBound: 0
; FloatMode: 240
; IeeeMode: 1
; LDSByteSize: 144 bytes/workgroup (compile time only)
; SGPRBlocks: 2
; VGPRBlocks: 4
; NumSGPRsForWavesPerEU: 21
; NumVGPRsForWavesPerEU: 35
; AccumOffset: 36
; Occupancy: 8
; WaveLimiterHint : 1
; COMPUTE_PGM_RSRC2:SCRATCH_EN: 0
; COMPUTE_PGM_RSRC2:USER_SGPR: 6
; COMPUTE_PGM_RSRC2:TRAP_HANDLER: 0
; COMPUTE_PGM_RSRC2:TGID_X_EN: 1
; COMPUTE_PGM_RSRC2:TGID_Y_EN: 0
; COMPUTE_PGM_RSRC2:TGID_Z_EN: 0
; COMPUTE_PGM_RSRC2:TIDIG_COMP_CNT: 0
; COMPUTE_PGM_RSRC3_GFX90A:ACCUM_OFFSET: 8
; COMPUTE_PGM_RSRC3_GFX90A:TG_SPLIT: 0
	.section	.text._Z23fp32_router_gemm_kernelIfLi128ELi10ELi256ELi3072EEvPfPKT_PKf,"axG",@progbits,_Z23fp32_router_gemm_kernelIfLi128ELi10ELi256ELi3072EEvPfPKT_PKf,comdat
	.protected	_Z23fp32_router_gemm_kernelIfLi128ELi10ELi256ELi3072EEvPfPKT_PKf ; -- Begin function _Z23fp32_router_gemm_kernelIfLi128ELi10ELi256ELi3072EEvPfPKT_PKf
	.globl	_Z23fp32_router_gemm_kernelIfLi128ELi10ELi256ELi3072EEvPfPKT_PKf
	.p2align	8
	.type	_Z23fp32_router_gemm_kernelIfLi128ELi10ELi256ELi3072EEvPfPKT_PKf,@function
_Z23fp32_router_gemm_kernelIfLi128ELi10ELi256ELi3072EEvPfPKT_PKf: ; @_Z23fp32_router_gemm_kernelIfLi128ELi10ELi256ELi3072EEvPfPKT_PKf
; %bb.0:
	s_load_dwordx4 s[0:3], s[4:5], 0x0
	s_load_dwordx2 s[8:9], s[4:5], 0x10
	s_mul_i32 s4, s6, 0xc00
	s_ashr_i32 s5, s4, 31
	s_lshl_b64 s[4:5], s[4:5], 2
	v_lshlrev_b32_e32 v2, 2, v0
	s_waitcnt lgkmcnt(0)
	s_add_u32 s4, s8, s4
	v_or_b32_e32 v1, 0x200, v2
	v_or_b32_e32 v4, 0x400, v2
	;; [unrolled: 1-line block ×5, first 2 shown]
	s_addc_u32 s5, s9, s5
	s_mov_b64 s[8:9], 0
	v_mov_b32_e32 v16, 0
	v_mov_b32_e32 v17, s3
	s_movk_i32 s7, 0x3000
	s_movk_i32 s10, 0x6000
	s_mov_b32 s11, 0x9000
	s_mov_b32 s12, 0xc000
	;; [unrolled: 1-line block ×7, first 2 shown]
	v_mov_b32_e32 v15, 0
	v_mov_b32_e32 v14, 0
	;; [unrolled: 1-line block ×9, first 2 shown]
.LBB9_1:                                ; =>This Inner Loop Header: Depth=1
	s_cmp_eq_u32 s8, 1
	s_cselect_b64 vcc, -1, 0
	s_cmp_eq_u32 s8, 2
	v_cndmask_b32_e32 v18, v2, v1, vcc
	s_cselect_b64 vcc, -1, 0
	s_cmp_eq_u32 s8, 3
	v_cndmask_b32_e32 v18, v18, v4, vcc
	;; [unrolled: 3-line block ×4, first 2 shown]
	s_cselect_b64 vcc, -1, 0
	v_cndmask_b32_e32 v18, v18, v5, vcc
	v_lshlrev_b32_e32 v26, 2, v18
	global_load_dwordx4 v[18:21], v26, s[2:3]
	global_load_dwordx4 v[22:25], v26, s[4:5]
	v_add_co_u32_e32 v34, vcc, s2, v26
	v_addc_co_u32_e32 v35, vcc, 0, v17, vcc
	v_add_co_u32_e32 v30, vcc, s7, v34
	v_addc_co_u32_e32 v31, vcc, 0, v35, vcc
	;; [unrolled: 2-line block ×3, first 2 shown]
	s_add_u32 s8, s8, 1
	s_addc_u32 s9, s9, 0
	s_cmp_eq_u32 s8, 6
	s_waitcnt vmcnt(0)
	v_fmac_f32_e32 v16, v18, v22
	v_fmac_f32_e32 v16, v19, v23
	v_fmac_f32_e32 v16, v20, v24
	v_fmac_f32_e32 v16, v21, v25
	global_load_dwordx4 v[18:21], v[30:31], off
	global_load_dwordx4 v[26:29], v[32:33], off
	v_add_co_u32_e32 v30, vcc, s11, v34
	v_addc_co_u32_e32 v31, vcc, 0, v35, vcc
	v_add_co_u32_e32 v32, vcc, s12, v34
	v_addc_co_u32_e32 v33, vcc, 0, v35, vcc
	s_waitcnt vmcnt(1)
	v_fmac_f32_e32 v15, v18, v22
	s_waitcnt vmcnt(0)
	v_fmac_f32_e32 v14, v26, v22
	v_fmac_f32_e32 v15, v19, v23
	v_fmac_f32_e32 v14, v27, v23
	v_fmac_f32_e32 v15, v20, v24
	v_fmac_f32_e32 v14, v28, v24
	v_fmac_f32_e32 v15, v21, v25
	v_fmac_f32_e32 v14, v29, v25
	global_load_dwordx4 v[18:21], v[30:31], off
	global_load_dwordx4 v[26:29], v[32:33], off
	v_add_co_u32_e32 v30, vcc, s13, v34
	v_addc_co_u32_e32 v31, vcc, 0, v35, vcc
	v_add_co_u32_e32 v32, vcc, s14, v34
	v_addc_co_u32_e32 v33, vcc, 0, v35, vcc
	s_waitcnt vmcnt(1)
	v_fmac_f32_e32 v13, v18, v22
	s_waitcnt vmcnt(0)
	v_fmac_f32_e32 v12, v26, v22
	v_fmac_f32_e32 v13, v19, v23
	v_fmac_f32_e32 v12, v27, v23
	v_fmac_f32_e32 v13, v20, v24
	v_fmac_f32_e32 v12, v28, v24
	v_fmac_f32_e32 v13, v21, v25
	v_fmac_f32_e32 v12, v29, v25
	global_load_dwordx4 v[18:21], v[30:31], off
	global_load_dwordx4 v[26:29], v[32:33], off
	v_add_co_u32_e32 v30, vcc, s15, v34
	v_addc_co_u32_e32 v31, vcc, 0, v35, vcc
	v_add_co_u32_e32 v32, vcc, s16, v34
	v_addc_co_u32_e32 v33, vcc, 0, v35, vcc
	s_waitcnt vmcnt(1)
	v_fmac_f32_e32 v11, v18, v22
	s_waitcnt vmcnt(0)
	v_fmac_f32_e32 v10, v26, v22
	v_fmac_f32_e32 v11, v19, v23
	v_fmac_f32_e32 v10, v27, v23
	v_fmac_f32_e32 v11, v20, v24
	v_fmac_f32_e32 v10, v28, v24
	;; [unrolled: 1-line block ×4, first 2 shown]
	global_load_dwordx4 v[18:21], v[30:31], off
	global_load_dwordx4 v[26:29], v[32:33], off
	s_waitcnt vmcnt(1)
	v_fmac_f32_e32 v9, v18, v22
	v_fmac_f32_e32 v9, v19, v23
	v_add_co_u32_e32 v18, vcc, s17, v34
	v_fmac_f32_e32 v9, v20, v24
	v_addc_co_u32_e32 v19, vcc, 0, v35, vcc
	v_fmac_f32_e32 v9, v21, v25
	global_load_dwordx4 v[18:21], v[18:19], off
	s_waitcnt vmcnt(1)
	v_fmac_f32_e32 v8, v26, v22
	v_fmac_f32_e32 v8, v27, v23
	;; [unrolled: 1-line block ×4, first 2 shown]
	s_waitcnt vmcnt(0)
	v_pk_mul_f32 v[18:19], v[18:19], v[22:23]
	v_add_f32_e32 v7, v7, v18
	v_pk_mul_f32 v[20:21], v[20:21], v[24:25]
	v_add_f32_e32 v7, v7, v19
	v_add_f32_e32 v7, v7, v20
	;; [unrolled: 1-line block ×3, first 2 shown]
	s_cbranch_scc0 .LBB9_1
; %bb.2:
	v_mbcnt_lo_u32_b32 v1, -1, 0
	v_mbcnt_hi_u32_b32 v5, -1, v1
	v_and_b32_e32 v2, 64, v5
	v_xor_b32_e32 v1, 16, v5
	v_add_u32_e32 v6, 64, v2
	v_cmp_lt_i32_e32 vcc, v1, v6
	v_cndmask_b32_e32 v1, v5, v1, vcc
	v_lshlrev_b32_e32 v1, 2, v1
	ds_bpermute_b32 v3, v1, v16
	v_xor_b32_e32 v2, 8, v5
	v_cmp_lt_i32_e32 vcc, v2, v6
	v_cndmask_b32_e32 v2, v5, v2, vcc
	v_lshlrev_b32_e32 v2, 2, v2
	s_waitcnt lgkmcnt(0)
	v_add_f32_e32 v4, v16, v3
	ds_bpermute_b32 v16, v2, v4
	v_xor_b32_e32 v3, 4, v5
	v_cmp_lt_i32_e32 vcc, v3, v6
	v_cndmask_b32_e32 v3, v5, v3, vcc
	v_lshlrev_b32_e32 v3, 2, v3
	s_waitcnt lgkmcnt(0)
	v_add_f32_e32 v16, v4, v16
	;; [unrolled: 7-line block ×4, first 2 shown]
	ds_bpermute_b32 v17, v6, v16
	v_lshrrev_b32_e32 v5, 5, v0
	v_and_b32_e32 v18, 31, v0
	v_cmp_eq_u32_e32 vcc, 0, v18
	v_lshlrev_b32_e32 v5, 2, v5
	s_and_saveexec_b64 s[2:3], vcc
	s_cbranch_execz .LBB9_4
; %bb.3:
	s_waitcnt lgkmcnt(0)
	v_add_f32_e32 v16, v16, v17
	ds_write_b32 v5, v16
.LBB9_4:
	s_or_b64 exec, exec, s[2:3]
	ds_bpermute_b32 v16, v1, v15
	s_waitcnt lgkmcnt(0)
	v_add_f32_e32 v15, v15, v16
	ds_bpermute_b32 v16, v2, v15
	s_waitcnt lgkmcnt(0)
	v_add_f32_e32 v15, v15, v16
	ds_bpermute_b32 v16, v3, v15
	s_waitcnt lgkmcnt(0)
	v_add_f32_e32 v15, v15, v16
	ds_bpermute_b32 v16, v4, v15
	s_waitcnt lgkmcnt(0)
	v_add_f32_e32 v15, v15, v16
	ds_bpermute_b32 v16, v6, v15
	s_and_saveexec_b64 s[2:3], vcc
	s_cbranch_execz .LBB9_6
; %bb.5:
	s_waitcnt lgkmcnt(0)
	v_add_f32_e32 v15, v15, v16
	ds_write_b32 v5, v15 offset:16
.LBB9_6:
	s_or_b64 exec, exec, s[2:3]
	ds_bpermute_b32 v15, v1, v14
	s_waitcnt lgkmcnt(0)
	v_add_f32_e32 v14, v14, v15
	ds_bpermute_b32 v15, v2, v14
	s_waitcnt lgkmcnt(0)
	v_add_f32_e32 v14, v14, v15
	ds_bpermute_b32 v15, v3, v14
	s_waitcnt lgkmcnt(0)
	v_add_f32_e32 v14, v14, v15
	ds_bpermute_b32 v15, v4, v14
	s_waitcnt lgkmcnt(0)
	v_add_f32_e32 v14, v14, v15
	ds_bpermute_b32 v15, v6, v14
	s_and_saveexec_b64 s[2:3], vcc
	s_cbranch_execz .LBB9_8
; %bb.7:
	s_waitcnt lgkmcnt(0)
	v_add_f32_e32 v14, v14, v15
	ds_write_b32 v5, v14 offset:32
.LBB9_8:
	;; [unrolled: 21-line block ×9, first 2 shown]
	s_or_b64 exec, exec, s[2:3]
	v_cmp_eq_u32_e32 vcc, 0, v0
	s_waitcnt lgkmcnt(0)
	s_barrier
	s_and_saveexec_b64 s[2:3], vcc
	s_cbranch_execz .LBB9_24
; %bb.23:
	v_mov_b32_e32 v16, 0
	ds_read_b128 v[0:3], v16
	s_ashr_i32 s7, s6, 31
	ds_read_b128 v[4:7], v16 offset:16
	ds_read_b128 v[8:11], v16 offset:32
	;; [unrolled: 1-line block ×3, first 2 shown]
	s_lshl_b64 s[2:3], s[6:7], 2
	s_add_u32 s0, s0, s2
	s_waitcnt lgkmcnt(3)
	v_add_f32_e32 v0, 0, v0
	v_add_f32_e32 v0, v0, v1
	;; [unrolled: 1-line block ×4, first 2 shown]
	s_addc_u32 s1, s1, s3
	global_store_dword v16, v0, s[0:1]
	s_waitcnt lgkmcnt(2)
	v_add_f32_e32 v0, 0, v4
	v_add_f32_e32 v0, v0, v5
	;; [unrolled: 1-line block ×4, first 2 shown]
	global_store_dword v16, v0, s[0:1] offset:1024
	s_waitcnt lgkmcnt(1)
	v_add_f32_e32 v0, 0, v8
	v_add_f32_e32 v0, v0, v9
	;; [unrolled: 1-line block ×4, first 2 shown]
	global_store_dword v16, v0, s[0:1] offset:2048
	s_waitcnt lgkmcnt(0)
	v_add_f32_e32 v0, 0, v12
	v_add_f32_e32 v4, v0, v13
	ds_read_b128 v[0:3], v16 offset:64
	v_add_f32_e32 v4, v4, v14
	v_add_f32_e32 v4, v4, v15
	global_store_dword v16, v4, s[0:1] offset:3072
	ds_read_b128 v[4:7], v16 offset:80
	s_waitcnt lgkmcnt(1)
	v_add_f32_e32 v0, 0, v0
	v_add_f32_e32 v0, v0, v1
	v_add_f32_e32 v0, v0, v2
	v_add_f32_e32 v0, v0, v3
	v_mov_b32_e32 v8, 0x1000
	global_store_dword v8, v0, s[0:1]
	s_waitcnt lgkmcnt(0)
	v_add_f32_e32 v0, 0, v4
	v_add_f32_e32 v4, v0, v5
	ds_read_b128 v[0:3], v16 offset:96
	v_add_f32_e32 v4, v4, v6
	v_add_f32_e32 v4, v4, v7
	global_store_dword v8, v4, s[0:1] offset:1024
	ds_read_b128 v[4:7], v16 offset:112
	s_waitcnt lgkmcnt(1)
	v_add_f32_e32 v0, 0, v0
	v_add_f32_e32 v0, v0, v1
	;; [unrolled: 1-line block ×4, first 2 shown]
	global_store_dword v8, v0, s[0:1] offset:2048
	s_waitcnt lgkmcnt(0)
	v_add_f32_e32 v0, 0, v4
	v_add_f32_e32 v4, v0, v5
	ds_read_b128 v[0:3], v16 offset:128
	v_add_f32_e32 v4, v4, v6
	v_add_f32_e32 v4, v4, v7
	global_store_dword v8, v4, s[0:1] offset:3072
	ds_read_b128 v[4:7], v16 offset:144
	s_waitcnt lgkmcnt(1)
	v_add_f32_e32 v0, 0, v0
	v_add_f32_e32 v0, v0, v1
	;; [unrolled: 1-line block ×4, first 2 shown]
	v_mov_b32_e32 v1, 0x2000
	global_store_dword v1, v0, s[0:1]
	s_waitcnt lgkmcnt(0)
	v_add_f32_e32 v0, 0, v4
	v_add_f32_e32 v0, v0, v5
	;; [unrolled: 1-line block ×4, first 2 shown]
	global_store_dword v1, v0, s[0:1] offset:1024
.LBB9_24:
	s_endpgm
	.section	.rodata,"a",@progbits
	.p2align	6, 0x0
	.amdhsa_kernel _Z23fp32_router_gemm_kernelIfLi128ELi10ELi256ELi3072EEvPfPKT_PKf
		.amdhsa_group_segment_fixed_size 160
		.amdhsa_private_segment_fixed_size 0
		.amdhsa_kernarg_size 24
		.amdhsa_user_sgpr_count 6
		.amdhsa_user_sgpr_private_segment_buffer 1
		.amdhsa_user_sgpr_dispatch_ptr 0
		.amdhsa_user_sgpr_queue_ptr 0
		.amdhsa_user_sgpr_kernarg_segment_ptr 1
		.amdhsa_user_sgpr_dispatch_id 0
		.amdhsa_user_sgpr_flat_scratch_init 0
		.amdhsa_user_sgpr_kernarg_preload_length 0
		.amdhsa_user_sgpr_kernarg_preload_offset 0
		.amdhsa_user_sgpr_private_segment_size 0
		.amdhsa_uses_dynamic_stack 0
		.amdhsa_system_sgpr_private_segment_wavefront_offset 0
		.amdhsa_system_sgpr_workgroup_id_x 1
		.amdhsa_system_sgpr_workgroup_id_y 0
		.amdhsa_system_sgpr_workgroup_id_z 0
		.amdhsa_system_sgpr_workgroup_info 0
		.amdhsa_system_vgpr_workitem_id 0
		.amdhsa_next_free_vgpr 36
		.amdhsa_next_free_sgpr 18
		.amdhsa_accum_offset 36
		.amdhsa_reserve_vcc 1
		.amdhsa_reserve_flat_scratch 0
		.amdhsa_float_round_mode_32 0
		.amdhsa_float_round_mode_16_64 0
		.amdhsa_float_denorm_mode_32 3
		.amdhsa_float_denorm_mode_16_64 3
		.amdhsa_dx10_clamp 1
		.amdhsa_ieee_mode 1
		.amdhsa_fp16_overflow 0
		.amdhsa_tg_split 0
		.amdhsa_exception_fp_ieee_invalid_op 0
		.amdhsa_exception_fp_denorm_src 0
		.amdhsa_exception_fp_ieee_div_zero 0
		.amdhsa_exception_fp_ieee_overflow 0
		.amdhsa_exception_fp_ieee_underflow 0
		.amdhsa_exception_fp_ieee_inexact 0
		.amdhsa_exception_int_div_zero 0
	.end_amdhsa_kernel
	.section	.text._Z23fp32_router_gemm_kernelIfLi128ELi10ELi256ELi3072EEvPfPKT_PKf,"axG",@progbits,_Z23fp32_router_gemm_kernelIfLi128ELi10ELi256ELi3072EEvPfPKT_PKf,comdat
.Lfunc_end9:
	.size	_Z23fp32_router_gemm_kernelIfLi128ELi10ELi256ELi3072EEvPfPKT_PKf, .Lfunc_end9-_Z23fp32_router_gemm_kernelIfLi128ELi10ELi256ELi3072EEvPfPKT_PKf
                                        ; -- End function
	.section	.AMDGPU.csdata,"",@progbits
; Kernel info:
; codeLenInByte = 2204
; NumSgprs: 22
; NumVgprs: 36
; NumAgprs: 0
; TotalNumVgprs: 36
; ScratchSize: 0
; MemoryBound: 0
; FloatMode: 240
; IeeeMode: 1
; LDSByteSize: 160 bytes/workgroup (compile time only)
; SGPRBlocks: 2
; VGPRBlocks: 4
; NumSGPRsForWavesPerEU: 22
; NumVGPRsForWavesPerEU: 36
; AccumOffset: 36
; Occupancy: 8
; WaveLimiterHint : 1
; COMPUTE_PGM_RSRC2:SCRATCH_EN: 0
; COMPUTE_PGM_RSRC2:USER_SGPR: 6
; COMPUTE_PGM_RSRC2:TRAP_HANDLER: 0
; COMPUTE_PGM_RSRC2:TGID_X_EN: 1
; COMPUTE_PGM_RSRC2:TGID_Y_EN: 0
; COMPUTE_PGM_RSRC2:TGID_Z_EN: 0
; COMPUTE_PGM_RSRC2:TIDIG_COMP_CNT: 0
; COMPUTE_PGM_RSRC3_GFX90A:ACCUM_OFFSET: 8
; COMPUTE_PGM_RSRC3_GFX90A:TG_SPLIT: 0
	.section	.text._Z23fp32_router_gemm_kernelIfLi128ELi11ELi256ELi3072EEvPfPKT_PKf,"axG",@progbits,_Z23fp32_router_gemm_kernelIfLi128ELi11ELi256ELi3072EEvPfPKT_PKf,comdat
	.protected	_Z23fp32_router_gemm_kernelIfLi128ELi11ELi256ELi3072EEvPfPKT_PKf ; -- Begin function _Z23fp32_router_gemm_kernelIfLi128ELi11ELi256ELi3072EEvPfPKT_PKf
	.globl	_Z23fp32_router_gemm_kernelIfLi128ELi11ELi256ELi3072EEvPfPKT_PKf
	.p2align	8
	.type	_Z23fp32_router_gemm_kernelIfLi128ELi11ELi256ELi3072EEvPfPKT_PKf,@function
_Z23fp32_router_gemm_kernelIfLi128ELi11ELi256ELi3072EEvPfPKT_PKf: ; @_Z23fp32_router_gemm_kernelIfLi128ELi11ELi256ELi3072EEvPfPKT_PKf
; %bb.0:
	s_load_dwordx4 s[0:3], s[4:5], 0x0
	s_load_dwordx2 s[8:9], s[4:5], 0x10
	s_mul_i32 s4, s6, 0xc00
	s_ashr_i32 s5, s4, 31
	s_lshl_b64 s[4:5], s[4:5], 2
	v_lshlrev_b32_e32 v2, 2, v0
	s_waitcnt lgkmcnt(0)
	s_add_u32 s4, s8, s4
	v_or_b32_e32 v1, 0x200, v2
	v_or_b32_e32 v4, 0x400, v2
	;; [unrolled: 1-line block ×5, first 2 shown]
	s_addc_u32 s5, s9, s5
	s_mov_b64 s[8:9], 0
	v_mov_b32_e32 v17, 0
	v_mov_b32_e32 v18, s3
	s_movk_i32 s7, 0x3000
	s_movk_i32 s10, 0x6000
	s_mov_b32 s11, 0x9000
	s_mov_b32 s12, 0xc000
	;; [unrolled: 1-line block ×8, first 2 shown]
	v_mov_b32_e32 v16, 0
	v_mov_b32_e32 v15, 0
	;; [unrolled: 1-line block ×10, first 2 shown]
.LBB10_1:                               ; =>This Inner Loop Header: Depth=1
	s_cmp_eq_u32 s8, 1
	s_cselect_b64 vcc, -1, 0
	s_cmp_eq_u32 s8, 2
	v_cndmask_b32_e32 v19, v2, v1, vcc
	s_cselect_b64 vcc, -1, 0
	s_cmp_eq_u32 s8, 3
	v_cndmask_b32_e32 v19, v19, v4, vcc
	;; [unrolled: 3-line block ×4, first 2 shown]
	s_cselect_b64 vcc, -1, 0
	v_cndmask_b32_e32 v19, v19, v5, vcc
	v_lshlrev_b32_e32 v19, 2, v19
	global_load_dwordx4 v[20:23], v19, s[2:3]
	global_load_dwordx4 v[24:27], v19, s[4:5]
	v_add_co_u32_e32 v19, vcc, s2, v19
	v_addc_co_u32_e32 v36, vcc, 0, v18, vcc
	v_add_co_u32_e32 v32, vcc, s7, v19
	v_addc_co_u32_e32 v33, vcc, 0, v36, vcc
	;; [unrolled: 2-line block ×3, first 2 shown]
	s_add_u32 s8, s8, 1
	s_addc_u32 s9, s9, 0
	s_cmp_eq_u32 s8, 6
	s_waitcnt vmcnt(0)
	v_fmac_f32_e32 v17, v20, v24
	v_fmac_f32_e32 v17, v21, v25
	v_fmac_f32_e32 v17, v22, v26
	v_fmac_f32_e32 v17, v23, v27
	global_load_dwordx4 v[20:23], v[32:33], off
	global_load_dwordx4 v[28:31], v[34:35], off
	v_add_co_u32_e32 v32, vcc, s11, v19
	v_addc_co_u32_e32 v33, vcc, 0, v36, vcc
	v_add_co_u32_e32 v34, vcc, s12, v19
	v_addc_co_u32_e32 v35, vcc, 0, v36, vcc
	s_waitcnt vmcnt(1)
	v_fmac_f32_e32 v16, v20, v24
	s_waitcnt vmcnt(0)
	v_fmac_f32_e32 v15, v28, v24
	v_fmac_f32_e32 v16, v21, v25
	v_fmac_f32_e32 v15, v29, v25
	v_fmac_f32_e32 v16, v22, v26
	v_fmac_f32_e32 v15, v30, v26
	v_fmac_f32_e32 v16, v23, v27
	v_fmac_f32_e32 v15, v31, v27
	global_load_dwordx4 v[20:23], v[32:33], off
	global_load_dwordx4 v[28:31], v[34:35], off
	v_add_co_u32_e32 v32, vcc, s13, v19
	v_addc_co_u32_e32 v33, vcc, 0, v36, vcc
	v_add_co_u32_e32 v34, vcc, s14, v19
	v_addc_co_u32_e32 v35, vcc, 0, v36, vcc
	s_waitcnt vmcnt(1)
	v_fmac_f32_e32 v14, v20, v24
	s_waitcnt vmcnt(0)
	v_fmac_f32_e32 v13, v28, v24
	v_fmac_f32_e32 v14, v21, v25
	v_fmac_f32_e32 v13, v29, v25
	v_fmac_f32_e32 v14, v22, v26
	v_fmac_f32_e32 v13, v30, v26
	v_fmac_f32_e32 v14, v23, v27
	v_fmac_f32_e32 v13, v31, v27
	global_load_dwordx4 v[20:23], v[32:33], off
	global_load_dwordx4 v[28:31], v[34:35], off
	v_add_co_u32_e32 v32, vcc, s15, v19
	v_addc_co_u32_e32 v33, vcc, 0, v36, vcc
	v_add_co_u32_e32 v34, vcc, s16, v19
	v_addc_co_u32_e32 v35, vcc, 0, v36, vcc
	s_waitcnt vmcnt(1)
	v_fmac_f32_e32 v12, v20, v24
	s_waitcnt vmcnt(0)
	v_fmac_f32_e32 v11, v28, v24
	v_fmac_f32_e32 v12, v21, v25
	v_fmac_f32_e32 v11, v29, v25
	v_fmac_f32_e32 v12, v22, v26
	v_fmac_f32_e32 v11, v30, v26
	;; [unrolled: 1-line block ×4, first 2 shown]
	global_load_dwordx4 v[20:23], v[32:33], off
	global_load_dwordx4 v[28:31], v[34:35], off
	v_add_co_u32_e32 v32, vcc, s17, v19
	v_addc_co_u32_e32 v33, vcc, 0, v36, vcc
	s_waitcnt vmcnt(1)
	v_fmac_f32_e32 v10, v20, v24
	v_fmac_f32_e32 v10, v21, v25
	v_add_co_u32_e32 v20, vcc, s18, v19
	v_fmac_f32_e32 v10, v22, v26
	v_addc_co_u32_e32 v21, vcc, 0, v36, vcc
	v_fmac_f32_e32 v10, v23, v27
	global_load_dwordx4 v[20:23], v[20:21], off
	s_waitcnt vmcnt(1)
	v_fmac_f32_e32 v9, v28, v24
	v_fmac_f32_e32 v9, v29, v25
	;; [unrolled: 1-line block ×4, first 2 shown]
	s_waitcnt vmcnt(0)
	v_pk_mul_f32 v[28:29], v[20:21], v[24:25]
	v_pk_mul_f32 v[30:31], v[22:23], v[26:27]
	global_load_dwordx4 v[20:23], v[32:33], off
	v_add_f32_e32 v7, v7, v28
	v_add_f32_e32 v7, v7, v29
	;; [unrolled: 1-line block ×4, first 2 shown]
	s_waitcnt vmcnt(0)
	v_fmac_f32_e32 v8, v20, v24
	v_fmac_f32_e32 v8, v21, v25
	;; [unrolled: 1-line block ×4, first 2 shown]
	s_cbranch_scc0 .LBB10_1
; %bb.2:
	v_mbcnt_lo_u32_b32 v1, -1, 0
	v_mbcnt_hi_u32_b32 v5, -1, v1
	v_and_b32_e32 v2, 64, v5
	v_xor_b32_e32 v1, 16, v5
	v_add_u32_e32 v6, 64, v2
	v_cmp_lt_i32_e32 vcc, v1, v6
	v_cndmask_b32_e32 v1, v5, v1, vcc
	v_lshlrev_b32_e32 v1, 2, v1
	ds_bpermute_b32 v3, v1, v17
	v_xor_b32_e32 v2, 8, v5
	v_cmp_lt_i32_e32 vcc, v2, v6
	v_cndmask_b32_e32 v2, v5, v2, vcc
	v_lshlrev_b32_e32 v2, 2, v2
	s_waitcnt lgkmcnt(0)
	v_add_f32_e32 v4, v17, v3
	ds_bpermute_b32 v17, v2, v4
	v_xor_b32_e32 v3, 4, v5
	v_cmp_lt_i32_e32 vcc, v3, v6
	v_cndmask_b32_e32 v3, v5, v3, vcc
	v_lshlrev_b32_e32 v3, 2, v3
	s_waitcnt lgkmcnt(0)
	v_add_f32_e32 v17, v4, v17
	;; [unrolled: 7-line block ×4, first 2 shown]
	ds_bpermute_b32 v18, v6, v17
	v_lshrrev_b32_e32 v5, 5, v0
	v_and_b32_e32 v19, 31, v0
	v_cmp_eq_u32_e32 vcc, 0, v19
	v_lshlrev_b32_e32 v5, 2, v5
	s_and_saveexec_b64 s[2:3], vcc
	s_cbranch_execz .LBB10_4
; %bb.3:
	s_waitcnt lgkmcnt(0)
	v_add_f32_e32 v17, v17, v18
	ds_write_b32 v5, v17
.LBB10_4:
	s_or_b64 exec, exec, s[2:3]
	ds_bpermute_b32 v17, v1, v16
	s_waitcnt lgkmcnt(0)
	v_add_f32_e32 v16, v16, v17
	ds_bpermute_b32 v17, v2, v16
	s_waitcnt lgkmcnt(0)
	v_add_f32_e32 v16, v16, v17
	ds_bpermute_b32 v17, v3, v16
	s_waitcnt lgkmcnt(0)
	v_add_f32_e32 v16, v16, v17
	ds_bpermute_b32 v17, v4, v16
	s_waitcnt lgkmcnt(0)
	v_add_f32_e32 v16, v16, v17
	ds_bpermute_b32 v17, v6, v16
	s_and_saveexec_b64 s[2:3], vcc
	s_cbranch_execz .LBB10_6
; %bb.5:
	s_waitcnt lgkmcnt(0)
	v_add_f32_e32 v16, v16, v17
	ds_write_b32 v5, v16 offset:16
.LBB10_6:
	s_or_b64 exec, exec, s[2:3]
	ds_bpermute_b32 v16, v1, v15
	s_waitcnt lgkmcnt(0)
	v_add_f32_e32 v15, v15, v16
	ds_bpermute_b32 v16, v2, v15
	s_waitcnt lgkmcnt(0)
	v_add_f32_e32 v15, v15, v16
	ds_bpermute_b32 v16, v3, v15
	s_waitcnt lgkmcnt(0)
	v_add_f32_e32 v15, v15, v16
	ds_bpermute_b32 v16, v4, v15
	s_waitcnt lgkmcnt(0)
	v_add_f32_e32 v15, v15, v16
	ds_bpermute_b32 v16, v6, v15
	s_and_saveexec_b64 s[2:3], vcc
	s_cbranch_execz .LBB10_8
; %bb.7:
	s_waitcnt lgkmcnt(0)
	v_add_f32_e32 v15, v15, v16
	ds_write_b32 v5, v15 offset:32
.LBB10_8:
	;; [unrolled: 21-line block ×10, first 2 shown]
	s_or_b64 exec, exec, s[2:3]
	v_cmp_eq_u32_e32 vcc, 0, v0
	s_waitcnt lgkmcnt(0)
	s_barrier
	s_and_saveexec_b64 s[2:3], vcc
	s_cbranch_execz .LBB10_26
; %bb.25:
	v_mov_b32_e32 v16, 0
	ds_read_b128 v[0:3], v16
	s_ashr_i32 s7, s6, 31
	ds_read_b128 v[4:7], v16 offset:16
	ds_read_b128 v[8:11], v16 offset:32
	;; [unrolled: 1-line block ×3, first 2 shown]
	s_lshl_b64 s[2:3], s[6:7], 2
	s_add_u32 s0, s0, s2
	s_waitcnt lgkmcnt(3)
	v_add_f32_e32 v0, 0, v0
	v_add_f32_e32 v0, v0, v1
	;; [unrolled: 1-line block ×4, first 2 shown]
	s_addc_u32 s1, s1, s3
	global_store_dword v16, v0, s[0:1]
	s_waitcnt lgkmcnt(2)
	v_add_f32_e32 v0, 0, v4
	v_add_f32_e32 v0, v0, v5
	;; [unrolled: 1-line block ×4, first 2 shown]
	global_store_dword v16, v0, s[0:1] offset:1024
	s_waitcnt lgkmcnt(1)
	v_add_f32_e32 v0, 0, v8
	v_add_f32_e32 v0, v0, v9
	;; [unrolled: 1-line block ×4, first 2 shown]
	global_store_dword v16, v0, s[0:1] offset:2048
	s_waitcnt lgkmcnt(0)
	v_add_f32_e32 v0, 0, v12
	v_add_f32_e32 v4, v0, v13
	ds_read_b128 v[0:3], v16 offset:64
	v_add_f32_e32 v4, v4, v14
	v_add_f32_e32 v4, v4, v15
	global_store_dword v16, v4, s[0:1] offset:3072
	ds_read_b128 v[4:7], v16 offset:80
	s_waitcnt lgkmcnt(1)
	v_add_f32_e32 v0, 0, v0
	v_add_f32_e32 v0, v0, v1
	;; [unrolled: 1-line block ×4, first 2 shown]
	v_mov_b32_e32 v8, 0x1000
	global_store_dword v8, v0, s[0:1]
	s_waitcnt lgkmcnt(0)
	v_add_f32_e32 v0, 0, v4
	v_add_f32_e32 v4, v0, v5
	ds_read_b128 v[0:3], v16 offset:96
	v_add_f32_e32 v4, v4, v6
	v_add_f32_e32 v4, v4, v7
	global_store_dword v8, v4, s[0:1] offset:1024
	ds_read_b128 v[4:7], v16 offset:112
	s_waitcnt lgkmcnt(1)
	v_add_f32_e32 v0, 0, v0
	v_add_f32_e32 v0, v0, v1
	;; [unrolled: 1-line block ×4, first 2 shown]
	global_store_dword v8, v0, s[0:1] offset:2048
	s_waitcnt lgkmcnt(0)
	v_add_f32_e32 v0, 0, v4
	v_add_f32_e32 v4, v0, v5
	ds_read_b128 v[0:3], v16 offset:128
	v_add_f32_e32 v4, v4, v6
	v_add_f32_e32 v4, v4, v7
	global_store_dword v8, v4, s[0:1] offset:3072
	ds_read_b128 v[4:7], v16 offset:144
	s_waitcnt lgkmcnt(1)
	v_add_f32_e32 v0, 0, v0
	v_add_f32_e32 v0, v0, v1
	;; [unrolled: 1-line block ×4, first 2 shown]
	v_mov_b32_e32 v8, 0x2000
	global_store_dword v8, v0, s[0:1]
	ds_read_b128 v[0:3], v16 offset:160
	s_waitcnt lgkmcnt(1)
	v_add_f32_e32 v4, 0, v4
	v_add_f32_e32 v4, v4, v5
	;; [unrolled: 1-line block ×4, first 2 shown]
	s_waitcnt lgkmcnt(0)
	v_add_f32_e32 v0, 0, v0
	v_add_f32_e32 v0, v0, v1
	;; [unrolled: 1-line block ×4, first 2 shown]
	global_store_dword v8, v4, s[0:1] offset:1024
	global_store_dword v8, v0, s[0:1] offset:2048
.LBB10_26:
	s_endpgm
	.section	.rodata,"a",@progbits
	.p2align	6, 0x0
	.amdhsa_kernel _Z23fp32_router_gemm_kernelIfLi128ELi11ELi256ELi3072EEvPfPKT_PKf
		.amdhsa_group_segment_fixed_size 176
		.amdhsa_private_segment_fixed_size 0
		.amdhsa_kernarg_size 24
		.amdhsa_user_sgpr_count 6
		.amdhsa_user_sgpr_private_segment_buffer 1
		.amdhsa_user_sgpr_dispatch_ptr 0
		.amdhsa_user_sgpr_queue_ptr 0
		.amdhsa_user_sgpr_kernarg_segment_ptr 1
		.amdhsa_user_sgpr_dispatch_id 0
		.amdhsa_user_sgpr_flat_scratch_init 0
		.amdhsa_user_sgpr_kernarg_preload_length 0
		.amdhsa_user_sgpr_kernarg_preload_offset 0
		.amdhsa_user_sgpr_private_segment_size 0
		.amdhsa_uses_dynamic_stack 0
		.amdhsa_system_sgpr_private_segment_wavefront_offset 0
		.amdhsa_system_sgpr_workgroup_id_x 1
		.amdhsa_system_sgpr_workgroup_id_y 0
		.amdhsa_system_sgpr_workgroup_id_z 0
		.amdhsa_system_sgpr_workgroup_info 0
		.amdhsa_system_vgpr_workitem_id 0
		.amdhsa_next_free_vgpr 37
		.amdhsa_next_free_sgpr 19
		.amdhsa_accum_offset 40
		.amdhsa_reserve_vcc 1
		.amdhsa_reserve_flat_scratch 0
		.amdhsa_float_round_mode_32 0
		.amdhsa_float_round_mode_16_64 0
		.amdhsa_float_denorm_mode_32 3
		.amdhsa_float_denorm_mode_16_64 3
		.amdhsa_dx10_clamp 1
		.amdhsa_ieee_mode 1
		.amdhsa_fp16_overflow 0
		.amdhsa_tg_split 0
		.amdhsa_exception_fp_ieee_invalid_op 0
		.amdhsa_exception_fp_denorm_src 0
		.amdhsa_exception_fp_ieee_div_zero 0
		.amdhsa_exception_fp_ieee_overflow 0
		.amdhsa_exception_fp_ieee_underflow 0
		.amdhsa_exception_fp_ieee_inexact 0
		.amdhsa_exception_int_div_zero 0
	.end_amdhsa_kernel
	.section	.text._Z23fp32_router_gemm_kernelIfLi128ELi11ELi256ELi3072EEvPfPKT_PKf,"axG",@progbits,_Z23fp32_router_gemm_kernelIfLi128ELi11ELi256ELi3072EEvPfPKT_PKf,comdat
.Lfunc_end10:
	.size	_Z23fp32_router_gemm_kernelIfLi128ELi11ELi256ELi3072EEvPfPKT_PKf, .Lfunc_end10-_Z23fp32_router_gemm_kernelIfLi128ELi11ELi256ELi3072EEvPfPKT_PKf
                                        ; -- End function
	.section	.AMDGPU.csdata,"",@progbits
; Kernel info:
; codeLenInByte = 2388
; NumSgprs: 23
; NumVgprs: 37
; NumAgprs: 0
; TotalNumVgprs: 37
; ScratchSize: 0
; MemoryBound: 0
; FloatMode: 240
; IeeeMode: 1
; LDSByteSize: 176 bytes/workgroup (compile time only)
; SGPRBlocks: 2
; VGPRBlocks: 4
; NumSGPRsForWavesPerEU: 23
; NumVGPRsForWavesPerEU: 37
; AccumOffset: 40
; Occupancy: 8
; WaveLimiterHint : 1
; COMPUTE_PGM_RSRC2:SCRATCH_EN: 0
; COMPUTE_PGM_RSRC2:USER_SGPR: 6
; COMPUTE_PGM_RSRC2:TRAP_HANDLER: 0
; COMPUTE_PGM_RSRC2:TGID_X_EN: 1
; COMPUTE_PGM_RSRC2:TGID_Y_EN: 0
; COMPUTE_PGM_RSRC2:TGID_Z_EN: 0
; COMPUTE_PGM_RSRC2:TIDIG_COMP_CNT: 0
; COMPUTE_PGM_RSRC3_GFX90A:ACCUM_OFFSET: 9
; COMPUTE_PGM_RSRC3_GFX90A:TG_SPLIT: 0
	.section	.text._Z23fp32_router_gemm_kernelIfLi128ELi12ELi256ELi3072EEvPfPKT_PKf,"axG",@progbits,_Z23fp32_router_gemm_kernelIfLi128ELi12ELi256ELi3072EEvPfPKT_PKf,comdat
	.protected	_Z23fp32_router_gemm_kernelIfLi128ELi12ELi256ELi3072EEvPfPKT_PKf ; -- Begin function _Z23fp32_router_gemm_kernelIfLi128ELi12ELi256ELi3072EEvPfPKT_PKf
	.globl	_Z23fp32_router_gemm_kernelIfLi128ELi12ELi256ELi3072EEvPfPKT_PKf
	.p2align	8
	.type	_Z23fp32_router_gemm_kernelIfLi128ELi12ELi256ELi3072EEvPfPKT_PKf,@function
_Z23fp32_router_gemm_kernelIfLi128ELi12ELi256ELi3072EEvPfPKT_PKf: ; @_Z23fp32_router_gemm_kernelIfLi128ELi12ELi256ELi3072EEvPfPKT_PKf
; %bb.0:
	s_load_dwordx4 s[0:3], s[4:5], 0x0
	s_load_dwordx2 s[8:9], s[4:5], 0x10
	s_mul_i32 s4, s6, 0xc00
	s_ashr_i32 s5, s4, 31
	s_lshl_b64 s[4:5], s[4:5], 2
	v_lshlrev_b32_e32 v2, 2, v0
	s_waitcnt lgkmcnt(0)
	s_add_u32 s4, s8, s4
	v_or_b32_e32 v1, 0x200, v2
	v_or_b32_e32 v4, 0x400, v2
	;; [unrolled: 1-line block ×5, first 2 shown]
	s_addc_u32 s5, s9, s5
	s_mov_b64 s[8:9], 0
	v_mov_b32_e32 v18, 0
	v_mov_b32_e32 v19, s3
	s_movk_i32 s7, 0x3000
	s_movk_i32 s10, 0x6000
	s_mov_b32 s11, 0x9000
	s_mov_b32 s12, 0xc000
	;; [unrolled: 1-line block ×9, first 2 shown]
	v_mov_b32_e32 v17, 0
	v_mov_b32_e32 v16, 0
	;; [unrolled: 1-line block ×11, first 2 shown]
.LBB11_1:                               ; =>This Inner Loop Header: Depth=1
	s_cmp_eq_u32 s8, 1
	s_cselect_b64 vcc, -1, 0
	s_cmp_eq_u32 s8, 2
	v_cndmask_b32_e32 v20, v2, v1, vcc
	s_cselect_b64 vcc, -1, 0
	s_cmp_eq_u32 s8, 3
	v_cndmask_b32_e32 v20, v20, v4, vcc
	;; [unrolled: 3-line block ×4, first 2 shown]
	s_cselect_b64 vcc, -1, 0
	v_cndmask_b32_e32 v20, v20, v5, vcc
	v_lshlrev_b32_e32 v28, 2, v20
	global_load_dwordx4 v[20:23], v28, s[2:3]
	global_load_dwordx4 v[24:27], v28, s[4:5]
	v_add_co_u32_e32 v36, vcc, s2, v28
	v_addc_co_u32_e32 v37, vcc, 0, v19, vcc
	v_add_co_u32_e32 v32, vcc, s7, v36
	v_addc_co_u32_e32 v33, vcc, 0, v37, vcc
	;; [unrolled: 2-line block ×3, first 2 shown]
	s_add_u32 s8, s8, 1
	s_addc_u32 s9, s9, 0
	s_cmp_eq_u32 s8, 6
	s_waitcnt vmcnt(0)
	v_fmac_f32_e32 v18, v20, v24
	v_fmac_f32_e32 v18, v21, v25
	v_fmac_f32_e32 v18, v22, v26
	v_fmac_f32_e32 v18, v23, v27
	global_load_dwordx4 v[20:23], v[32:33], off
	global_load_dwordx4 v[28:31], v[34:35], off
	v_add_co_u32_e32 v32, vcc, s11, v36
	v_addc_co_u32_e32 v33, vcc, 0, v37, vcc
	v_add_co_u32_e32 v34, vcc, s12, v36
	v_addc_co_u32_e32 v35, vcc, 0, v37, vcc
	s_waitcnt vmcnt(1)
	v_fmac_f32_e32 v17, v20, v24
	s_waitcnt vmcnt(0)
	v_fmac_f32_e32 v16, v28, v24
	v_fmac_f32_e32 v17, v21, v25
	v_fmac_f32_e32 v16, v29, v25
	v_fmac_f32_e32 v17, v22, v26
	v_fmac_f32_e32 v16, v30, v26
	v_fmac_f32_e32 v17, v23, v27
	v_fmac_f32_e32 v16, v31, v27
	global_load_dwordx4 v[20:23], v[32:33], off
	global_load_dwordx4 v[28:31], v[34:35], off
	v_add_co_u32_e32 v32, vcc, s13, v36
	v_addc_co_u32_e32 v33, vcc, 0, v37, vcc
	v_add_co_u32_e32 v34, vcc, s14, v36
	v_addc_co_u32_e32 v35, vcc, 0, v37, vcc
	s_waitcnt vmcnt(1)
	v_fmac_f32_e32 v15, v20, v24
	s_waitcnt vmcnt(0)
	v_fmac_f32_e32 v14, v28, v24
	v_fmac_f32_e32 v15, v21, v25
	v_fmac_f32_e32 v14, v29, v25
	;; [unrolled: 16-line block ×4, first 2 shown]
	v_fmac_f32_e32 v11, v22, v26
	v_fmac_f32_e32 v10, v30, v26
	;; [unrolled: 1-line block ×4, first 2 shown]
	global_load_dwordx4 v[20:23], v[32:33], off
	global_load_dwordx4 v[28:31], v[34:35], off
	s_waitcnt vmcnt(1)
	v_fmac_f32_e32 v9, v20, v24
	v_fmac_f32_e32 v9, v21, v25
	v_add_co_u32_e32 v20, vcc, s19, v36
	v_fmac_f32_e32 v9, v22, v26
	v_addc_co_u32_e32 v21, vcc, 0, v37, vcc
	v_fmac_f32_e32 v9, v23, v27
	global_load_dwordx4 v[20:23], v[20:21], off
	s_waitcnt vmcnt(1)
	v_fmac_f32_e32 v8, v28, v24
	v_fmac_f32_e32 v8, v29, v25
	;; [unrolled: 1-line block ×4, first 2 shown]
	s_waitcnt vmcnt(0)
	v_pk_mul_f32 v[20:21], v[20:21], v[24:25]
	v_add_f32_e32 v7, v7, v20
	v_pk_mul_f32 v[22:23], v[22:23], v[26:27]
	v_add_f32_e32 v7, v7, v21
	v_add_f32_e32 v7, v7, v22
	;; [unrolled: 1-line block ×3, first 2 shown]
	s_cbranch_scc0 .LBB11_1
; %bb.2:
	v_mbcnt_lo_u32_b32 v1, -1, 0
	v_mbcnt_hi_u32_b32 v5, -1, v1
	v_and_b32_e32 v2, 64, v5
	v_xor_b32_e32 v1, 16, v5
	v_add_u32_e32 v6, 64, v2
	v_cmp_lt_i32_e32 vcc, v1, v6
	v_cndmask_b32_e32 v1, v5, v1, vcc
	v_lshlrev_b32_e32 v1, 2, v1
	ds_bpermute_b32 v3, v1, v18
	v_xor_b32_e32 v2, 8, v5
	v_cmp_lt_i32_e32 vcc, v2, v6
	v_cndmask_b32_e32 v2, v5, v2, vcc
	v_lshlrev_b32_e32 v2, 2, v2
	s_waitcnt lgkmcnt(0)
	v_add_f32_e32 v4, v18, v3
	ds_bpermute_b32 v18, v2, v4
	v_xor_b32_e32 v3, 4, v5
	v_cmp_lt_i32_e32 vcc, v3, v6
	v_cndmask_b32_e32 v3, v5, v3, vcc
	v_lshlrev_b32_e32 v3, 2, v3
	s_waitcnt lgkmcnt(0)
	v_add_f32_e32 v18, v4, v18
	;; [unrolled: 7-line block ×4, first 2 shown]
	ds_bpermute_b32 v19, v6, v18
	v_lshrrev_b32_e32 v5, 5, v0
	v_and_b32_e32 v20, 31, v0
	v_cmp_eq_u32_e32 vcc, 0, v20
	v_lshlrev_b32_e32 v5, 2, v5
	s_and_saveexec_b64 s[2:3], vcc
	s_cbranch_execz .LBB11_4
; %bb.3:
	s_waitcnt lgkmcnt(0)
	v_add_f32_e32 v18, v18, v19
	ds_write_b32 v5, v18
.LBB11_4:
	s_or_b64 exec, exec, s[2:3]
	ds_bpermute_b32 v18, v1, v17
	s_waitcnt lgkmcnt(0)
	v_add_f32_e32 v17, v17, v18
	ds_bpermute_b32 v18, v2, v17
	s_waitcnt lgkmcnt(0)
	v_add_f32_e32 v17, v17, v18
	ds_bpermute_b32 v18, v3, v17
	s_waitcnt lgkmcnt(0)
	v_add_f32_e32 v17, v17, v18
	ds_bpermute_b32 v18, v4, v17
	s_waitcnt lgkmcnt(0)
	v_add_f32_e32 v17, v17, v18
	ds_bpermute_b32 v18, v6, v17
	s_and_saveexec_b64 s[2:3], vcc
	s_cbranch_execz .LBB11_6
; %bb.5:
	s_waitcnt lgkmcnt(0)
	v_add_f32_e32 v17, v17, v18
	ds_write_b32 v5, v17 offset:16
.LBB11_6:
	s_or_b64 exec, exec, s[2:3]
	ds_bpermute_b32 v17, v1, v16
	s_waitcnt lgkmcnt(0)
	v_add_f32_e32 v16, v16, v17
	ds_bpermute_b32 v17, v2, v16
	s_waitcnt lgkmcnt(0)
	v_add_f32_e32 v16, v16, v17
	ds_bpermute_b32 v17, v3, v16
	s_waitcnt lgkmcnt(0)
	v_add_f32_e32 v16, v16, v17
	ds_bpermute_b32 v17, v4, v16
	s_waitcnt lgkmcnt(0)
	v_add_f32_e32 v16, v16, v17
	ds_bpermute_b32 v17, v6, v16
	s_and_saveexec_b64 s[2:3], vcc
	s_cbranch_execz .LBB11_8
; %bb.7:
	s_waitcnt lgkmcnt(0)
	v_add_f32_e32 v16, v16, v17
	ds_write_b32 v5, v16 offset:32
.LBB11_8:
	;; [unrolled: 21-line block ×11, first 2 shown]
	s_or_b64 exec, exec, s[2:3]
	v_cmp_eq_u32_e32 vcc, 0, v0
	s_waitcnt lgkmcnt(0)
	s_barrier
	s_and_saveexec_b64 s[2:3], vcc
	s_cbranch_execz .LBB11_28
; %bb.27:
	v_mov_b32_e32 v16, 0
	ds_read_b128 v[0:3], v16
	s_ashr_i32 s7, s6, 31
	ds_read_b128 v[4:7], v16 offset:16
	ds_read_b128 v[8:11], v16 offset:32
	;; [unrolled: 1-line block ×3, first 2 shown]
	s_lshl_b64 s[2:3], s[6:7], 2
	s_add_u32 s0, s0, s2
	s_waitcnt lgkmcnt(3)
	v_add_f32_e32 v0, 0, v0
	v_add_f32_e32 v0, v0, v1
	;; [unrolled: 1-line block ×4, first 2 shown]
	s_addc_u32 s1, s1, s3
	global_store_dword v16, v0, s[0:1]
	s_waitcnt lgkmcnt(2)
	v_add_f32_e32 v0, 0, v4
	v_add_f32_e32 v0, v0, v5
	;; [unrolled: 1-line block ×4, first 2 shown]
	global_store_dword v16, v0, s[0:1] offset:1024
	s_waitcnt lgkmcnt(1)
	v_add_f32_e32 v0, 0, v8
	v_add_f32_e32 v0, v0, v9
	;; [unrolled: 1-line block ×4, first 2 shown]
	global_store_dword v16, v0, s[0:1] offset:2048
	s_waitcnt lgkmcnt(0)
	v_add_f32_e32 v0, 0, v12
	v_add_f32_e32 v4, v0, v13
	ds_read_b128 v[0:3], v16 offset:64
	v_add_f32_e32 v4, v4, v14
	v_add_f32_e32 v4, v4, v15
	global_store_dword v16, v4, s[0:1] offset:3072
	ds_read_b128 v[4:7], v16 offset:80
	s_waitcnt lgkmcnt(1)
	v_add_f32_e32 v0, 0, v0
	v_add_f32_e32 v0, v0, v1
	;; [unrolled: 1-line block ×4, first 2 shown]
	v_mov_b32_e32 v8, 0x1000
	global_store_dword v8, v0, s[0:1]
	s_waitcnt lgkmcnt(0)
	v_add_f32_e32 v0, 0, v4
	v_add_f32_e32 v4, v0, v5
	ds_read_b128 v[0:3], v16 offset:96
	v_add_f32_e32 v4, v4, v6
	v_add_f32_e32 v4, v4, v7
	global_store_dword v8, v4, s[0:1] offset:1024
	ds_read_b128 v[4:7], v16 offset:112
	s_waitcnt lgkmcnt(1)
	v_add_f32_e32 v0, 0, v0
	v_add_f32_e32 v0, v0, v1
	v_add_f32_e32 v0, v0, v2
	v_add_f32_e32 v0, v0, v3
	global_store_dword v8, v0, s[0:1] offset:2048
	s_waitcnt lgkmcnt(0)
	v_add_f32_e32 v0, 0, v4
	v_add_f32_e32 v4, v0, v5
	ds_read_b128 v[0:3], v16 offset:128
	v_add_f32_e32 v4, v4, v6
	v_add_f32_e32 v4, v4, v7
	global_store_dword v8, v4, s[0:1] offset:3072
	ds_read_b128 v[4:7], v16 offset:144
	s_waitcnt lgkmcnt(1)
	v_add_f32_e32 v0, 0, v0
	v_add_f32_e32 v0, v0, v1
	v_add_f32_e32 v0, v0, v2
	v_add_f32_e32 v0, v0, v3
	v_mov_b32_e32 v12, 0x2000
	global_store_dword v12, v0, s[0:1]
	ds_read_b128 v[0:3], v16 offset:160
	ds_read_b128 v[8:11], v16 offset:176
	s_waitcnt lgkmcnt(2)
	v_add_f32_e32 v4, 0, v4
	v_add_f32_e32 v4, v4, v5
	;; [unrolled: 1-line block ×3, first 2 shown]
	s_waitcnt lgkmcnt(1)
	v_add_f32_e32 v0, 0, v0
	v_add_f32_e32 v0, v0, v1
	;; [unrolled: 1-line block ×4, first 2 shown]
	global_store_dword v12, v0, s[0:1] offset:2048
	s_waitcnt lgkmcnt(0)
	v_add_f32_e32 v0, 0, v8
	v_add_f32_e32 v0, v0, v9
	;; [unrolled: 1-line block ×5, first 2 shown]
	global_store_dword v12, v4, s[0:1] offset:1024
	global_store_dword v12, v0, s[0:1] offset:3072
.LBB11_28:
	s_endpgm
	.section	.rodata,"a",@progbits
	.p2align	6, 0x0
	.amdhsa_kernel _Z23fp32_router_gemm_kernelIfLi128ELi12ELi256ELi3072EEvPfPKT_PKf
		.amdhsa_group_segment_fixed_size 192
		.amdhsa_private_segment_fixed_size 0
		.amdhsa_kernarg_size 24
		.amdhsa_user_sgpr_count 6
		.amdhsa_user_sgpr_private_segment_buffer 1
		.amdhsa_user_sgpr_dispatch_ptr 0
		.amdhsa_user_sgpr_queue_ptr 0
		.amdhsa_user_sgpr_kernarg_segment_ptr 1
		.amdhsa_user_sgpr_dispatch_id 0
		.amdhsa_user_sgpr_flat_scratch_init 0
		.amdhsa_user_sgpr_kernarg_preload_length 0
		.amdhsa_user_sgpr_kernarg_preload_offset 0
		.amdhsa_user_sgpr_private_segment_size 0
		.amdhsa_uses_dynamic_stack 0
		.amdhsa_system_sgpr_private_segment_wavefront_offset 0
		.amdhsa_system_sgpr_workgroup_id_x 1
		.amdhsa_system_sgpr_workgroup_id_y 0
		.amdhsa_system_sgpr_workgroup_id_z 0
		.amdhsa_system_sgpr_workgroup_info 0
		.amdhsa_system_vgpr_workitem_id 0
		.amdhsa_next_free_vgpr 38
		.amdhsa_next_free_sgpr 20
		.amdhsa_accum_offset 40
		.amdhsa_reserve_vcc 1
		.amdhsa_reserve_flat_scratch 0
		.amdhsa_float_round_mode_32 0
		.amdhsa_float_round_mode_16_64 0
		.amdhsa_float_denorm_mode_32 3
		.amdhsa_float_denorm_mode_16_64 3
		.amdhsa_dx10_clamp 1
		.amdhsa_ieee_mode 1
		.amdhsa_fp16_overflow 0
		.amdhsa_tg_split 0
		.amdhsa_exception_fp_ieee_invalid_op 0
		.amdhsa_exception_fp_denorm_src 0
		.amdhsa_exception_fp_ieee_div_zero 0
		.amdhsa_exception_fp_ieee_overflow 0
		.amdhsa_exception_fp_ieee_underflow 0
		.amdhsa_exception_fp_ieee_inexact 0
		.amdhsa_exception_int_div_zero 0
	.end_amdhsa_kernel
	.section	.text._Z23fp32_router_gemm_kernelIfLi128ELi12ELi256ELi3072EEvPfPKT_PKf,"axG",@progbits,_Z23fp32_router_gemm_kernelIfLi128ELi12ELi256ELi3072EEvPfPKT_PKf,comdat
.Lfunc_end11:
	.size	_Z23fp32_router_gemm_kernelIfLi128ELi12ELi256ELi3072EEvPfPKT_PKf, .Lfunc_end11-_Z23fp32_router_gemm_kernelIfLi128ELi12ELi256ELi3072EEvPfPKT_PKf
                                        ; -- End function
	.section	.AMDGPU.csdata,"",@progbits
; Kernel info:
; codeLenInByte = 2572
; NumSgprs: 24
; NumVgprs: 38
; NumAgprs: 0
; TotalNumVgprs: 38
; ScratchSize: 0
; MemoryBound: 0
; FloatMode: 240
; IeeeMode: 1
; LDSByteSize: 192 bytes/workgroup (compile time only)
; SGPRBlocks: 2
; VGPRBlocks: 4
; NumSGPRsForWavesPerEU: 24
; NumVGPRsForWavesPerEU: 38
; AccumOffset: 40
; Occupancy: 8
; WaveLimiterHint : 1
; COMPUTE_PGM_RSRC2:SCRATCH_EN: 0
; COMPUTE_PGM_RSRC2:USER_SGPR: 6
; COMPUTE_PGM_RSRC2:TRAP_HANDLER: 0
; COMPUTE_PGM_RSRC2:TGID_X_EN: 1
; COMPUTE_PGM_RSRC2:TGID_Y_EN: 0
; COMPUTE_PGM_RSRC2:TGID_Z_EN: 0
; COMPUTE_PGM_RSRC2:TIDIG_COMP_CNT: 0
; COMPUTE_PGM_RSRC3_GFX90A:ACCUM_OFFSET: 9
; COMPUTE_PGM_RSRC3_GFX90A:TG_SPLIT: 0
	.section	.text._Z23fp32_router_gemm_kernelIfLi128ELi13ELi256ELi3072EEvPfPKT_PKf,"axG",@progbits,_Z23fp32_router_gemm_kernelIfLi128ELi13ELi256ELi3072EEvPfPKT_PKf,comdat
	.protected	_Z23fp32_router_gemm_kernelIfLi128ELi13ELi256ELi3072EEvPfPKT_PKf ; -- Begin function _Z23fp32_router_gemm_kernelIfLi128ELi13ELi256ELi3072EEvPfPKT_PKf
	.globl	_Z23fp32_router_gemm_kernelIfLi128ELi13ELi256ELi3072EEvPfPKT_PKf
	.p2align	8
	.type	_Z23fp32_router_gemm_kernelIfLi128ELi13ELi256ELi3072EEvPfPKT_PKf,@function
_Z23fp32_router_gemm_kernelIfLi128ELi13ELi256ELi3072EEvPfPKT_PKf: ; @_Z23fp32_router_gemm_kernelIfLi128ELi13ELi256ELi3072EEvPfPKT_PKf
; %bb.0:
	s_load_dwordx4 s[0:3], s[4:5], 0x0
	s_load_dwordx2 s[8:9], s[4:5], 0x10
	s_mul_i32 s4, s6, 0xc00
	s_ashr_i32 s5, s4, 31
	s_lshl_b64 s[4:5], s[4:5], 2
	v_lshlrev_b32_e32 v2, 2, v0
	s_waitcnt lgkmcnt(0)
	s_add_u32 s4, s8, s4
	v_or_b32_e32 v1, 0x200, v2
	v_or_b32_e32 v4, 0x400, v2
	;; [unrolled: 1-line block ×5, first 2 shown]
	s_addc_u32 s5, s9, s5
	s_mov_b64 s[8:9], 0
	v_mov_b32_e32 v19, 0
	v_mov_b32_e32 v20, s3
	s_movk_i32 s7, 0x3000
	s_movk_i32 s10, 0x6000
	s_mov_b32 s11, 0x9000
	s_mov_b32 s12, 0xc000
	;; [unrolled: 1-line block ×10, first 2 shown]
	v_mov_b32_e32 v18, 0
	v_mov_b32_e32 v17, 0
	;; [unrolled: 1-line block ×12, first 2 shown]
.LBB12_1:                               ; =>This Inner Loop Header: Depth=1
	s_cmp_eq_u32 s8, 1
	s_cselect_b64 vcc, -1, 0
	s_cmp_eq_u32 s8, 2
	v_cndmask_b32_e32 v21, v2, v1, vcc
	s_cselect_b64 vcc, -1, 0
	s_cmp_eq_u32 s8, 3
	v_cndmask_b32_e32 v21, v21, v4, vcc
	s_cselect_b64 vcc, -1, 0
	s_cmp_eq_u32 s8, 4
	v_cndmask_b32_e32 v21, v21, v3, vcc
	s_cselect_b64 vcc, -1, 0
	s_cmp_eq_u32 s8, 5
	v_cndmask_b32_e32 v21, v21, v6, vcc
	s_cselect_b64 vcc, -1, 0
	v_cndmask_b32_e32 v21, v21, v5, vcc
	v_lshlrev_b32_e32 v21, 2, v21
	global_load_dwordx4 v[22:25], v21, s[2:3]
	global_load_dwordx4 v[26:29], v21, s[4:5]
	v_add_co_u32_e32 v21, vcc, s2, v21
	v_addc_co_u32_e32 v38, vcc, 0, v20, vcc
	v_add_co_u32_e32 v34, vcc, s7, v21
	v_addc_co_u32_e32 v35, vcc, 0, v38, vcc
	v_add_co_u32_e32 v36, vcc, s10, v21
	v_addc_co_u32_e32 v37, vcc, 0, v38, vcc
	s_add_u32 s8, s8, 1
	s_addc_u32 s9, s9, 0
	s_cmp_eq_u32 s8, 6
	s_waitcnt vmcnt(0)
	v_fmac_f32_e32 v19, v22, v26
	v_fmac_f32_e32 v19, v23, v27
	v_fmac_f32_e32 v19, v24, v28
	v_fmac_f32_e32 v19, v25, v29
	global_load_dwordx4 v[22:25], v[34:35], off
	global_load_dwordx4 v[30:33], v[36:37], off
	v_add_co_u32_e32 v34, vcc, s11, v21
	v_addc_co_u32_e32 v35, vcc, 0, v38, vcc
	v_add_co_u32_e32 v36, vcc, s12, v21
	v_addc_co_u32_e32 v37, vcc, 0, v38, vcc
	s_waitcnt vmcnt(1)
	v_fmac_f32_e32 v18, v22, v26
	s_waitcnt vmcnt(0)
	v_fmac_f32_e32 v17, v30, v26
	v_fmac_f32_e32 v18, v23, v27
	v_fmac_f32_e32 v17, v31, v27
	v_fmac_f32_e32 v18, v24, v28
	v_fmac_f32_e32 v17, v32, v28
	v_fmac_f32_e32 v18, v25, v29
	v_fmac_f32_e32 v17, v33, v29
	global_load_dwordx4 v[22:25], v[34:35], off
	global_load_dwordx4 v[30:33], v[36:37], off
	v_add_co_u32_e32 v34, vcc, s13, v21
	v_addc_co_u32_e32 v35, vcc, 0, v38, vcc
	v_add_co_u32_e32 v36, vcc, s14, v21
	v_addc_co_u32_e32 v37, vcc, 0, v38, vcc
	s_waitcnt vmcnt(1)
	v_fmac_f32_e32 v16, v22, v26
	s_waitcnt vmcnt(0)
	v_fmac_f32_e32 v15, v30, v26
	v_fmac_f32_e32 v16, v23, v27
	v_fmac_f32_e32 v15, v31, v27
	;; [unrolled: 16-line block ×4, first 2 shown]
	v_fmac_f32_e32 v12, v24, v28
	v_fmac_f32_e32 v11, v32, v28
	;; [unrolled: 1-line block ×4, first 2 shown]
	global_load_dwordx4 v[22:25], v[34:35], off
	global_load_dwordx4 v[30:33], v[36:37], off
	s_waitcnt vmcnt(1)
	v_fmac_f32_e32 v10, v22, v26
	v_fmac_f32_e32 v10, v23, v27
	v_add_co_u32_e32 v22, vcc, s20, v21
	v_fmac_f32_e32 v10, v24, v28
	v_addc_co_u32_e32 v23, vcc, 0, v38, vcc
	v_fmac_f32_e32 v10, v25, v29
	global_load_dwordx4 v[22:25], v[22:23], off
	s_waitcnt vmcnt(1)
	v_fmac_f32_e32 v9, v30, v26
	v_fmac_f32_e32 v9, v31, v27
	;; [unrolled: 1-line block ×4, first 2 shown]
	s_waitcnt vmcnt(0)
	v_pk_mul_f32 v[22:23], v[22:23], v[26:27]
	v_pk_mul_f32 v[30:31], v[24:25], v[28:29]
	v_add_co_u32_e32 v24, vcc, s19, v21
	v_addc_co_u32_e32 v25, vcc, 0, v38, vcc
	v_add_f32_e32 v7, v7, v22
	v_add_f32_e32 v7, v7, v23
	global_load_dwordx4 v[22:25], v[24:25], off
	v_add_f32_e32 v7, v7, v30
	v_add_f32_e32 v7, v7, v31
	s_waitcnt vmcnt(0)
	v_fmac_f32_e32 v8, v22, v26
	v_fmac_f32_e32 v8, v23, v27
	v_fmac_f32_e32 v8, v24, v28
	v_fmac_f32_e32 v8, v25, v29
	s_cbranch_scc0 .LBB12_1
; %bb.2:
	v_mbcnt_lo_u32_b32 v1, -1, 0
	v_mbcnt_hi_u32_b32 v5, -1, v1
	v_and_b32_e32 v2, 64, v5
	v_xor_b32_e32 v1, 16, v5
	v_add_u32_e32 v6, 64, v2
	v_cmp_lt_i32_e32 vcc, v1, v6
	v_cndmask_b32_e32 v1, v5, v1, vcc
	v_lshlrev_b32_e32 v1, 2, v1
	ds_bpermute_b32 v3, v1, v19
	v_xor_b32_e32 v2, 8, v5
	v_cmp_lt_i32_e32 vcc, v2, v6
	v_cndmask_b32_e32 v2, v5, v2, vcc
	v_lshlrev_b32_e32 v2, 2, v2
	s_waitcnt lgkmcnt(0)
	v_add_f32_e32 v4, v19, v3
	ds_bpermute_b32 v19, v2, v4
	v_xor_b32_e32 v3, 4, v5
	v_cmp_lt_i32_e32 vcc, v3, v6
	v_cndmask_b32_e32 v3, v5, v3, vcc
	v_lshlrev_b32_e32 v3, 2, v3
	s_waitcnt lgkmcnt(0)
	v_add_f32_e32 v19, v4, v19
	;; [unrolled: 7-line block ×4, first 2 shown]
	ds_bpermute_b32 v20, v6, v19
	v_lshrrev_b32_e32 v5, 5, v0
	v_and_b32_e32 v21, 31, v0
	v_cmp_eq_u32_e32 vcc, 0, v21
	v_lshlrev_b32_e32 v5, 2, v5
	s_and_saveexec_b64 s[2:3], vcc
	s_cbranch_execz .LBB12_4
; %bb.3:
	s_waitcnt lgkmcnt(0)
	v_add_f32_e32 v19, v19, v20
	ds_write_b32 v5, v19
.LBB12_4:
	s_or_b64 exec, exec, s[2:3]
	ds_bpermute_b32 v19, v1, v18
	s_waitcnt lgkmcnt(0)
	v_add_f32_e32 v18, v18, v19
	ds_bpermute_b32 v19, v2, v18
	s_waitcnt lgkmcnt(0)
	v_add_f32_e32 v18, v18, v19
	ds_bpermute_b32 v19, v3, v18
	s_waitcnt lgkmcnt(0)
	v_add_f32_e32 v18, v18, v19
	ds_bpermute_b32 v19, v4, v18
	s_waitcnt lgkmcnt(0)
	v_add_f32_e32 v18, v18, v19
	ds_bpermute_b32 v19, v6, v18
	s_and_saveexec_b64 s[2:3], vcc
	s_cbranch_execz .LBB12_6
; %bb.5:
	s_waitcnt lgkmcnt(0)
	v_add_f32_e32 v18, v18, v19
	ds_write_b32 v5, v18 offset:16
.LBB12_6:
	s_or_b64 exec, exec, s[2:3]
	ds_bpermute_b32 v18, v1, v17
	s_waitcnt lgkmcnt(0)
	v_add_f32_e32 v17, v17, v18
	ds_bpermute_b32 v18, v2, v17
	s_waitcnt lgkmcnt(0)
	v_add_f32_e32 v17, v17, v18
	ds_bpermute_b32 v18, v3, v17
	s_waitcnt lgkmcnt(0)
	v_add_f32_e32 v17, v17, v18
	ds_bpermute_b32 v18, v4, v17
	s_waitcnt lgkmcnt(0)
	v_add_f32_e32 v17, v17, v18
	ds_bpermute_b32 v18, v6, v17
	s_and_saveexec_b64 s[2:3], vcc
	s_cbranch_execz .LBB12_8
; %bb.7:
	s_waitcnt lgkmcnt(0)
	v_add_f32_e32 v17, v17, v18
	ds_write_b32 v5, v17 offset:32
.LBB12_8:
	s_or_b64 exec, exec, s[2:3]
	ds_bpermute_b32 v17, v1, v16
	s_waitcnt lgkmcnt(0)
	v_add_f32_e32 v16, v16, v17
	ds_bpermute_b32 v17, v2, v16
	s_waitcnt lgkmcnt(0)
	v_add_f32_e32 v16, v16, v17
	ds_bpermute_b32 v17, v3, v16
	s_waitcnt lgkmcnt(0)
	v_add_f32_e32 v16, v16, v17
	ds_bpermute_b32 v17, v4, v16
	s_waitcnt lgkmcnt(0)
	v_add_f32_e32 v16, v16, v17
	ds_bpermute_b32 v17, v6, v16
	s_and_saveexec_b64 s[2:3], vcc
	s_cbranch_execz .LBB12_10
; %bb.9:
	s_waitcnt lgkmcnt(0)
	v_add_f32_e32 v16, v16, v17
	ds_write_b32 v5, v16 offset:48
.LBB12_10:
	s_or_b64 exec, exec, s[2:3]
	ds_bpermute_b32 v16, v1, v15
	s_waitcnt lgkmcnt(0)
	v_add_f32_e32 v15, v15, v16
	ds_bpermute_b32 v16, v2, v15
	s_waitcnt lgkmcnt(0)
	v_add_f32_e32 v15, v15, v16
	ds_bpermute_b32 v16, v3, v15
	s_waitcnt lgkmcnt(0)
	v_add_f32_e32 v15, v15, v16
	ds_bpermute_b32 v16, v4, v15
	s_waitcnt lgkmcnt(0)
	v_add_f32_e32 v15, v15, v16
	ds_bpermute_b32 v16, v6, v15
	s_and_saveexec_b64 s[2:3], vcc
	s_cbranch_execz .LBB12_12
; %bb.11:
	s_waitcnt lgkmcnt(0)
	v_add_f32_e32 v15, v15, v16
	ds_write_b32 v5, v15 offset:64
.LBB12_12:
	s_or_b64 exec, exec, s[2:3]
	ds_bpermute_b32 v15, v1, v14
	s_waitcnt lgkmcnt(0)
	v_add_f32_e32 v14, v14, v15
	ds_bpermute_b32 v15, v2, v14
	s_waitcnt lgkmcnt(0)
	v_add_f32_e32 v14, v14, v15
	ds_bpermute_b32 v15, v3, v14
	s_waitcnt lgkmcnt(0)
	v_add_f32_e32 v14, v14, v15
	ds_bpermute_b32 v15, v4, v14
	s_waitcnt lgkmcnt(0)
	v_add_f32_e32 v14, v14, v15
	ds_bpermute_b32 v15, v6, v14
	s_and_saveexec_b64 s[2:3], vcc
	s_cbranch_execz .LBB12_14
; %bb.13:
	s_waitcnt lgkmcnt(0)
	v_add_f32_e32 v14, v14, v15
	ds_write_b32 v5, v14 offset:80
.LBB12_14:
	s_or_b64 exec, exec, s[2:3]
	ds_bpermute_b32 v14, v1, v13
	s_waitcnt lgkmcnt(0)
	v_add_f32_e32 v13, v13, v14
	ds_bpermute_b32 v14, v2, v13
	s_waitcnt lgkmcnt(0)
	v_add_f32_e32 v13, v13, v14
	ds_bpermute_b32 v14, v3, v13
	s_waitcnt lgkmcnt(0)
	v_add_f32_e32 v13, v13, v14
	ds_bpermute_b32 v14, v4, v13
	s_waitcnt lgkmcnt(0)
	v_add_f32_e32 v13, v13, v14
	ds_bpermute_b32 v14, v6, v13
	s_and_saveexec_b64 s[2:3], vcc
	s_cbranch_execz .LBB12_16
; %bb.15:
	s_waitcnt lgkmcnt(0)
	v_add_f32_e32 v13, v13, v14
	ds_write_b32 v5, v13 offset:96
.LBB12_16:
	s_or_b64 exec, exec, s[2:3]
	ds_bpermute_b32 v13, v1, v12
	s_waitcnt lgkmcnt(0)
	v_add_f32_e32 v12, v12, v13
	ds_bpermute_b32 v13, v2, v12
	s_waitcnt lgkmcnt(0)
	v_add_f32_e32 v12, v12, v13
	ds_bpermute_b32 v13, v3, v12
	s_waitcnt lgkmcnt(0)
	v_add_f32_e32 v12, v12, v13
	ds_bpermute_b32 v13, v4, v12
	s_waitcnt lgkmcnt(0)
	v_add_f32_e32 v12, v12, v13
	ds_bpermute_b32 v13, v6, v12
	s_and_saveexec_b64 s[2:3], vcc
	s_cbranch_execz .LBB12_18
; %bb.17:
	s_waitcnt lgkmcnt(0)
	v_add_f32_e32 v12, v12, v13
	ds_write_b32 v5, v12 offset:112
.LBB12_18:
	s_or_b64 exec, exec, s[2:3]
	ds_bpermute_b32 v12, v1, v11
	s_waitcnt lgkmcnt(0)
	v_add_f32_e32 v11, v11, v12
	ds_bpermute_b32 v12, v2, v11
	s_waitcnt lgkmcnt(0)
	v_add_f32_e32 v11, v11, v12
	ds_bpermute_b32 v12, v3, v11
	s_waitcnt lgkmcnt(0)
	v_add_f32_e32 v11, v11, v12
	ds_bpermute_b32 v12, v4, v11
	s_waitcnt lgkmcnt(0)
	v_add_f32_e32 v11, v11, v12
	ds_bpermute_b32 v12, v6, v11
	s_and_saveexec_b64 s[2:3], vcc
	s_cbranch_execz .LBB12_20
; %bb.19:
	s_waitcnt lgkmcnt(0)
	v_add_f32_e32 v11, v11, v12
	ds_write_b32 v5, v11 offset:128
.LBB12_20:
	s_or_b64 exec, exec, s[2:3]
	ds_bpermute_b32 v11, v1, v10
	s_waitcnt lgkmcnt(0)
	v_add_f32_e32 v10, v10, v11
	ds_bpermute_b32 v11, v2, v10
	s_waitcnt lgkmcnt(0)
	v_add_f32_e32 v10, v10, v11
	ds_bpermute_b32 v11, v3, v10
	s_waitcnt lgkmcnt(0)
	v_add_f32_e32 v10, v10, v11
	ds_bpermute_b32 v11, v4, v10
	s_waitcnt lgkmcnt(0)
	v_add_f32_e32 v10, v10, v11
	ds_bpermute_b32 v11, v6, v10
	s_and_saveexec_b64 s[2:3], vcc
	s_cbranch_execz .LBB12_22
; %bb.21:
	s_waitcnt lgkmcnt(0)
	v_add_f32_e32 v10, v10, v11
	ds_write_b32 v5, v10 offset:144
.LBB12_22:
	s_or_b64 exec, exec, s[2:3]
	ds_bpermute_b32 v10, v1, v9
	s_waitcnt lgkmcnt(0)
	v_add_f32_e32 v9, v9, v10
	ds_bpermute_b32 v10, v2, v9
	s_waitcnt lgkmcnt(0)
	v_add_f32_e32 v9, v9, v10
	ds_bpermute_b32 v10, v3, v9
	s_waitcnt lgkmcnt(0)
	v_add_f32_e32 v9, v9, v10
	ds_bpermute_b32 v10, v4, v9
	s_waitcnt lgkmcnt(0)
	v_add_f32_e32 v9, v9, v10
	ds_bpermute_b32 v10, v6, v9
	s_and_saveexec_b64 s[2:3], vcc
	s_cbranch_execz .LBB12_24
; %bb.23:
	s_waitcnt lgkmcnt(0)
	v_add_f32_e32 v9, v9, v10
	ds_write_b32 v5, v9 offset:160
.LBB12_24:
	s_or_b64 exec, exec, s[2:3]
	ds_bpermute_b32 v9, v1, v8
	s_waitcnt lgkmcnt(0)
	v_add_f32_e32 v8, v8, v9
	ds_bpermute_b32 v9, v2, v8
	s_waitcnt lgkmcnt(0)
	v_add_f32_e32 v8, v8, v9
	ds_bpermute_b32 v9, v3, v8
	s_waitcnt lgkmcnt(0)
	v_add_f32_e32 v8, v8, v9
	ds_bpermute_b32 v9, v4, v8
	s_waitcnt lgkmcnt(0)
	v_add_f32_e32 v8, v8, v9
	ds_bpermute_b32 v9, v6, v8
	s_and_saveexec_b64 s[2:3], vcc
	s_cbranch_execz .LBB12_26
; %bb.25:
	s_waitcnt lgkmcnt(0)
	v_add_f32_e32 v8, v8, v9
	ds_write_b32 v5, v8 offset:176
.LBB12_26:
	s_or_b64 exec, exec, s[2:3]
	ds_bpermute_b32 v1, v1, v7
	s_waitcnt lgkmcnt(0)
	v_add_f32_e32 v1, v7, v1
	ds_bpermute_b32 v2, v2, v1
	s_waitcnt lgkmcnt(0)
	v_add_f32_e32 v1, v1, v2
	ds_bpermute_b32 v2, v3, v1
	s_waitcnt lgkmcnt(0)
	v_add_f32_e32 v1, v1, v2
	ds_bpermute_b32 v2, v4, v1
	s_waitcnt lgkmcnt(0)
	v_add_f32_e32 v1, v1, v2
	ds_bpermute_b32 v2, v6, v1
	s_and_saveexec_b64 s[2:3], vcc
	s_cbranch_execz .LBB12_28
; %bb.27:
	s_waitcnt lgkmcnt(0)
	v_add_f32_e32 v1, v1, v2
	ds_write_b32 v5, v1 offset:192
.LBB12_28:
	s_or_b64 exec, exec, s[2:3]
	v_cmp_eq_u32_e32 vcc, 0, v0
	s_waitcnt lgkmcnt(0)
	s_barrier
	s_and_saveexec_b64 s[2:3], vcc
	s_cbranch_execz .LBB12_30
; %bb.29:
	v_mov_b32_e32 v16, 0
	ds_read_b128 v[0:3], v16
	s_ashr_i32 s7, s6, 31
	ds_read_b128 v[4:7], v16 offset:16
	ds_read_b128 v[8:11], v16 offset:32
	;; [unrolled: 1-line block ×3, first 2 shown]
	s_lshl_b64 s[2:3], s[6:7], 2
	s_add_u32 s0, s0, s2
	s_waitcnt lgkmcnt(3)
	v_add_f32_e32 v0, 0, v0
	v_add_f32_e32 v0, v0, v1
	;; [unrolled: 1-line block ×4, first 2 shown]
	s_addc_u32 s1, s1, s3
	global_store_dword v16, v0, s[0:1]
	s_waitcnt lgkmcnt(2)
	v_add_f32_e32 v0, 0, v4
	v_add_f32_e32 v0, v0, v5
	;; [unrolled: 1-line block ×4, first 2 shown]
	global_store_dword v16, v0, s[0:1] offset:1024
	s_waitcnt lgkmcnt(1)
	v_add_f32_e32 v0, 0, v8
	v_add_f32_e32 v0, v0, v9
	;; [unrolled: 1-line block ×4, first 2 shown]
	global_store_dword v16, v0, s[0:1] offset:2048
	s_waitcnt lgkmcnt(0)
	v_add_f32_e32 v0, 0, v12
	v_add_f32_e32 v4, v0, v13
	ds_read_b128 v[0:3], v16 offset:64
	v_add_f32_e32 v4, v4, v14
	v_add_f32_e32 v4, v4, v15
	global_store_dword v16, v4, s[0:1] offset:3072
	ds_read_b128 v[4:7], v16 offset:80
	s_waitcnt lgkmcnt(1)
	v_add_f32_e32 v0, 0, v0
	v_add_f32_e32 v0, v0, v1
	;; [unrolled: 1-line block ×4, first 2 shown]
	v_mov_b32_e32 v8, 0x1000
	global_store_dword v8, v0, s[0:1]
	s_waitcnt lgkmcnt(0)
	v_add_f32_e32 v0, 0, v4
	v_add_f32_e32 v4, v0, v5
	ds_read_b128 v[0:3], v16 offset:96
	v_add_f32_e32 v4, v4, v6
	v_add_f32_e32 v4, v4, v7
	global_store_dword v8, v4, s[0:1] offset:1024
	ds_read_b128 v[4:7], v16 offset:112
	s_waitcnt lgkmcnt(1)
	v_add_f32_e32 v0, 0, v0
	v_add_f32_e32 v0, v0, v1
	;; [unrolled: 1-line block ×4, first 2 shown]
	global_store_dword v8, v0, s[0:1] offset:2048
	s_waitcnt lgkmcnt(0)
	v_add_f32_e32 v0, 0, v4
	v_add_f32_e32 v4, v0, v5
	ds_read_b128 v[0:3], v16 offset:128
	v_add_f32_e32 v4, v4, v6
	v_add_f32_e32 v4, v4, v7
	global_store_dword v8, v4, s[0:1] offset:3072
	ds_read_b128 v[4:7], v16 offset:144
	s_waitcnt lgkmcnt(1)
	v_add_f32_e32 v0, 0, v0
	v_add_f32_e32 v0, v0, v1
	;; [unrolled: 1-line block ×4, first 2 shown]
	v_mov_b32_e32 v17, 0x2000
	global_store_dword v17, v0, s[0:1]
	ds_read_b128 v[0:3], v16 offset:160
	ds_read_b128 v[8:11], v16 offset:176
	;; [unrolled: 1-line block ×3, first 2 shown]
	s_waitcnt lgkmcnt(3)
	v_add_f32_e32 v4, 0, v4
	v_add_f32_e32 v4, v4, v5
	s_waitcnt lgkmcnt(2)
	v_add_f32_e32 v0, 0, v0
	v_add_f32_e32 v0, v0, v1
	;; [unrolled: 1-line block ×4, first 2 shown]
	global_store_dword v17, v0, s[0:1] offset:2048
	s_waitcnt lgkmcnt(1)
	v_add_f32_e32 v0, 0, v8
	v_add_f32_e32 v0, v0, v9
	;; [unrolled: 1-line block ×4, first 2 shown]
	global_store_dword v17, v0, s[0:1] offset:3072
	s_waitcnt lgkmcnt(0)
	v_add_f32_e32 v0, 0, v12
	v_add_f32_e32 v0, v0, v13
	;; [unrolled: 1-line block ×6, first 2 shown]
	v_mov_b32_e32 v1, 0x3000
	global_store_dword v17, v4, s[0:1] offset:1024
	global_store_dword v1, v0, s[0:1]
.LBB12_30:
	s_endpgm
	.section	.rodata,"a",@progbits
	.p2align	6, 0x0
	.amdhsa_kernel _Z23fp32_router_gemm_kernelIfLi128ELi13ELi256ELi3072EEvPfPKT_PKf
		.amdhsa_group_segment_fixed_size 208
		.amdhsa_private_segment_fixed_size 0
		.amdhsa_kernarg_size 24
		.amdhsa_user_sgpr_count 6
		.amdhsa_user_sgpr_private_segment_buffer 1
		.amdhsa_user_sgpr_dispatch_ptr 0
		.amdhsa_user_sgpr_queue_ptr 0
		.amdhsa_user_sgpr_kernarg_segment_ptr 1
		.amdhsa_user_sgpr_dispatch_id 0
		.amdhsa_user_sgpr_flat_scratch_init 0
		.amdhsa_user_sgpr_kernarg_preload_length 0
		.amdhsa_user_sgpr_kernarg_preload_offset 0
		.amdhsa_user_sgpr_private_segment_size 0
		.amdhsa_uses_dynamic_stack 0
		.amdhsa_system_sgpr_private_segment_wavefront_offset 0
		.amdhsa_system_sgpr_workgroup_id_x 1
		.amdhsa_system_sgpr_workgroup_id_y 0
		.amdhsa_system_sgpr_workgroup_id_z 0
		.amdhsa_system_sgpr_workgroup_info 0
		.amdhsa_system_vgpr_workitem_id 0
		.amdhsa_next_free_vgpr 39
		.amdhsa_next_free_sgpr 21
		.amdhsa_accum_offset 40
		.amdhsa_reserve_vcc 1
		.amdhsa_reserve_flat_scratch 0
		.amdhsa_float_round_mode_32 0
		.amdhsa_float_round_mode_16_64 0
		.amdhsa_float_denorm_mode_32 3
		.amdhsa_float_denorm_mode_16_64 3
		.amdhsa_dx10_clamp 1
		.amdhsa_ieee_mode 1
		.amdhsa_fp16_overflow 0
		.amdhsa_tg_split 0
		.amdhsa_exception_fp_ieee_invalid_op 0
		.amdhsa_exception_fp_denorm_src 0
		.amdhsa_exception_fp_ieee_div_zero 0
		.amdhsa_exception_fp_ieee_overflow 0
		.amdhsa_exception_fp_ieee_underflow 0
		.amdhsa_exception_fp_ieee_inexact 0
		.amdhsa_exception_int_div_zero 0
	.end_amdhsa_kernel
	.section	.text._Z23fp32_router_gemm_kernelIfLi128ELi13ELi256ELi3072EEvPfPKT_PKf,"axG",@progbits,_Z23fp32_router_gemm_kernelIfLi128ELi13ELi256ELi3072EEvPfPKT_PKf,comdat
.Lfunc_end12:
	.size	_Z23fp32_router_gemm_kernelIfLi128ELi13ELi256ELi3072EEvPfPKT_PKf, .Lfunc_end12-_Z23fp32_router_gemm_kernelIfLi128ELi13ELi256ELi3072EEvPfPKT_PKf
                                        ; -- End function
	.section	.AMDGPU.csdata,"",@progbits
; Kernel info:
; codeLenInByte = 2764
; NumSgprs: 25
; NumVgprs: 39
; NumAgprs: 0
; TotalNumVgprs: 39
; ScratchSize: 0
; MemoryBound: 0
; FloatMode: 240
; IeeeMode: 1
; LDSByteSize: 208 bytes/workgroup (compile time only)
; SGPRBlocks: 3
; VGPRBlocks: 4
; NumSGPRsForWavesPerEU: 25
; NumVGPRsForWavesPerEU: 39
; AccumOffset: 40
; Occupancy: 8
; WaveLimiterHint : 1
; COMPUTE_PGM_RSRC2:SCRATCH_EN: 0
; COMPUTE_PGM_RSRC2:USER_SGPR: 6
; COMPUTE_PGM_RSRC2:TRAP_HANDLER: 0
; COMPUTE_PGM_RSRC2:TGID_X_EN: 1
; COMPUTE_PGM_RSRC2:TGID_Y_EN: 0
; COMPUTE_PGM_RSRC2:TGID_Z_EN: 0
; COMPUTE_PGM_RSRC2:TIDIG_COMP_CNT: 0
; COMPUTE_PGM_RSRC3_GFX90A:ACCUM_OFFSET: 9
; COMPUTE_PGM_RSRC3_GFX90A:TG_SPLIT: 0
	.section	.text._Z23fp32_router_gemm_kernelIfLi128ELi14ELi256ELi3072EEvPfPKT_PKf,"axG",@progbits,_Z23fp32_router_gemm_kernelIfLi128ELi14ELi256ELi3072EEvPfPKT_PKf,comdat
	.protected	_Z23fp32_router_gemm_kernelIfLi128ELi14ELi256ELi3072EEvPfPKT_PKf ; -- Begin function _Z23fp32_router_gemm_kernelIfLi128ELi14ELi256ELi3072EEvPfPKT_PKf
	.globl	_Z23fp32_router_gemm_kernelIfLi128ELi14ELi256ELi3072EEvPfPKT_PKf
	.p2align	8
	.type	_Z23fp32_router_gemm_kernelIfLi128ELi14ELi256ELi3072EEvPfPKT_PKf,@function
_Z23fp32_router_gemm_kernelIfLi128ELi14ELi256ELi3072EEvPfPKT_PKf: ; @_Z23fp32_router_gemm_kernelIfLi128ELi14ELi256ELi3072EEvPfPKT_PKf
; %bb.0:
	s_load_dwordx4 s[0:3], s[4:5], 0x0
	s_load_dwordx2 s[8:9], s[4:5], 0x10
	s_mul_i32 s4, s6, 0xc00
	s_ashr_i32 s5, s4, 31
	s_lshl_b64 s[4:5], s[4:5], 2
	v_lshlrev_b32_e32 v2, 2, v0
	s_waitcnt lgkmcnt(0)
	s_add_u32 s4, s8, s4
	v_or_b32_e32 v1, 0x200, v2
	v_or_b32_e32 v4, 0x400, v2
	v_or_b32_e32 v3, 0x600, v2
	v_or_b32_e32 v6, 0x800, v2
	v_or_b32_e32 v5, 0xa00, v2
	s_addc_u32 s5, s9, s5
	s_mov_b64 s[8:9], 0
	v_mov_b32_e32 v20, 0
	v_mov_b32_e32 v21, s3
	s_movk_i32 s7, 0x3000
	s_movk_i32 s10, 0x6000
	s_mov_b32 s11, 0x9000
	s_mov_b32 s12, 0xc000
	;; [unrolled: 1-line block ×11, first 2 shown]
	v_mov_b32_e32 v19, 0
	v_mov_b32_e32 v18, 0
	;; [unrolled: 1-line block ×13, first 2 shown]
.LBB13_1:                               ; =>This Inner Loop Header: Depth=1
	s_cmp_eq_u32 s8, 1
	s_cselect_b64 vcc, -1, 0
	s_cmp_eq_u32 s8, 2
	v_cndmask_b32_e32 v22, v2, v1, vcc
	s_cselect_b64 vcc, -1, 0
	s_cmp_eq_u32 s8, 3
	v_cndmask_b32_e32 v22, v22, v4, vcc
	;; [unrolled: 3-line block ×4, first 2 shown]
	s_cselect_b64 vcc, -1, 0
	v_cndmask_b32_e32 v22, v22, v5, vcc
	v_lshlrev_b32_e32 v30, 2, v22
	global_load_dwordx4 v[22:25], v30, s[2:3]
	global_load_dwordx4 v[26:29], v30, s[4:5]
	v_add_co_u32_e32 v38, vcc, s2, v30
	v_addc_co_u32_e32 v39, vcc, 0, v21, vcc
	v_add_co_u32_e32 v34, vcc, s7, v38
	v_addc_co_u32_e32 v35, vcc, 0, v39, vcc
	;; [unrolled: 2-line block ×3, first 2 shown]
	s_add_u32 s8, s8, 1
	s_addc_u32 s9, s9, 0
	s_cmp_eq_u32 s8, 6
	s_waitcnt vmcnt(0)
	v_fmac_f32_e32 v20, v22, v26
	v_fmac_f32_e32 v20, v23, v27
	v_fmac_f32_e32 v20, v24, v28
	v_fmac_f32_e32 v20, v25, v29
	global_load_dwordx4 v[22:25], v[34:35], off
	global_load_dwordx4 v[30:33], v[36:37], off
	v_add_co_u32_e32 v34, vcc, s11, v38
	v_addc_co_u32_e32 v35, vcc, 0, v39, vcc
	v_add_co_u32_e32 v36, vcc, s12, v38
	v_addc_co_u32_e32 v37, vcc, 0, v39, vcc
	s_waitcnt vmcnt(1)
	v_fmac_f32_e32 v19, v22, v26
	s_waitcnt vmcnt(0)
	v_fmac_f32_e32 v18, v30, v26
	v_fmac_f32_e32 v19, v23, v27
	v_fmac_f32_e32 v18, v31, v27
	v_fmac_f32_e32 v19, v24, v28
	v_fmac_f32_e32 v18, v32, v28
	v_fmac_f32_e32 v19, v25, v29
	v_fmac_f32_e32 v18, v33, v29
	global_load_dwordx4 v[22:25], v[34:35], off
	global_load_dwordx4 v[30:33], v[36:37], off
	v_add_co_u32_e32 v34, vcc, s13, v38
	v_addc_co_u32_e32 v35, vcc, 0, v39, vcc
	v_add_co_u32_e32 v36, vcc, s14, v38
	v_addc_co_u32_e32 v37, vcc, 0, v39, vcc
	s_waitcnt vmcnt(1)
	v_fmac_f32_e32 v17, v22, v26
	s_waitcnt vmcnt(0)
	v_fmac_f32_e32 v16, v30, v26
	v_fmac_f32_e32 v17, v23, v27
	v_fmac_f32_e32 v16, v31, v27
	v_fmac_f32_e32 v17, v24, v28
	v_fmac_f32_e32 v16, v32, v28
	v_fmac_f32_e32 v17, v25, v29
	v_fmac_f32_e32 v16, v33, v29
	global_load_dwordx4 v[22:25], v[34:35], off
	global_load_dwordx4 v[30:33], v[36:37], off
	v_add_co_u32_e32 v34, vcc, s15, v38
	v_addc_co_u32_e32 v35, vcc, 0, v39, vcc
	v_add_co_u32_e32 v36, vcc, s16, v38
	v_addc_co_u32_e32 v37, vcc, 0, v39, vcc
	s_waitcnt vmcnt(1)
	v_fmac_f32_e32 v15, v22, v26
	s_waitcnt vmcnt(0)
	v_fmac_f32_e32 v14, v30, v26
	v_fmac_f32_e32 v15, v23, v27
	v_fmac_f32_e32 v14, v31, v27
	v_fmac_f32_e32 v15, v24, v28
	v_fmac_f32_e32 v14, v32, v28
	v_fmac_f32_e32 v15, v25, v29
	v_fmac_f32_e32 v14, v33, v29
	global_load_dwordx4 v[22:25], v[34:35], off
	global_load_dwordx4 v[30:33], v[36:37], off
	v_add_co_u32_e32 v34, vcc, s17, v38
	v_addc_co_u32_e32 v35, vcc, 0, v39, vcc
	v_add_co_u32_e32 v36, vcc, s18, v38
	v_addc_co_u32_e32 v37, vcc, 0, v39, vcc
	s_waitcnt vmcnt(1)
	v_fmac_f32_e32 v13, v22, v26
	s_waitcnt vmcnt(0)
	v_fmac_f32_e32 v12, v30, v26
	v_fmac_f32_e32 v13, v23, v27
	v_fmac_f32_e32 v12, v31, v27
	v_fmac_f32_e32 v13, v24, v28
	v_fmac_f32_e32 v12, v32, v28
	v_fmac_f32_e32 v13, v25, v29
	v_fmac_f32_e32 v12, v33, v29
	global_load_dwordx4 v[22:25], v[34:35], off
	global_load_dwordx4 v[30:33], v[36:37], off
	v_add_co_u32_e32 v34, vcc, s19, v38
	v_addc_co_u32_e32 v35, vcc, 0, v39, vcc
	v_add_co_u32_e32 v36, vcc, s20, v38
	v_addc_co_u32_e32 v37, vcc, 0, v39, vcc
	s_waitcnt vmcnt(1)
	v_fmac_f32_e32 v11, v22, v26
	s_waitcnt vmcnt(0)
	v_fmac_f32_e32 v10, v30, v26
	v_fmac_f32_e32 v11, v23, v27
	v_fmac_f32_e32 v10, v31, v27
	v_fmac_f32_e32 v11, v24, v28
	v_fmac_f32_e32 v10, v32, v28
	;; [unrolled: 1-line block ×4, first 2 shown]
	global_load_dwordx4 v[22:25], v[34:35], off
	global_load_dwordx4 v[30:33], v[36:37], off
	s_waitcnt vmcnt(1)
	v_fmac_f32_e32 v9, v22, v26
	v_fmac_f32_e32 v9, v23, v27
	v_add_co_u32_e32 v22, vcc, s21, v38
	v_fmac_f32_e32 v9, v24, v28
	v_addc_co_u32_e32 v23, vcc, 0, v39, vcc
	v_fmac_f32_e32 v9, v25, v29
	global_load_dwordx4 v[22:25], v[22:23], off
	s_waitcnt vmcnt(1)
	v_fmac_f32_e32 v8, v30, v26
	v_fmac_f32_e32 v8, v31, v27
	v_fmac_f32_e32 v8, v32, v28
	v_fmac_f32_e32 v8, v33, v29
	s_waitcnt vmcnt(0)
	v_pk_mul_f32 v[22:23], v[22:23], v[26:27]
	v_add_f32_e32 v7, v7, v22
	v_pk_mul_f32 v[24:25], v[24:25], v[28:29]
	v_add_f32_e32 v7, v7, v23
	v_add_f32_e32 v7, v7, v24
	;; [unrolled: 1-line block ×3, first 2 shown]
	s_cbranch_scc0 .LBB13_1
; %bb.2:
	v_mbcnt_lo_u32_b32 v1, -1, 0
	v_mbcnt_hi_u32_b32 v5, -1, v1
	v_and_b32_e32 v2, 64, v5
	v_xor_b32_e32 v1, 16, v5
	v_add_u32_e32 v6, 64, v2
	v_cmp_lt_i32_e32 vcc, v1, v6
	v_cndmask_b32_e32 v1, v5, v1, vcc
	v_lshlrev_b32_e32 v1, 2, v1
	ds_bpermute_b32 v3, v1, v20
	v_xor_b32_e32 v2, 8, v5
	v_cmp_lt_i32_e32 vcc, v2, v6
	v_cndmask_b32_e32 v2, v5, v2, vcc
	v_lshlrev_b32_e32 v2, 2, v2
	s_waitcnt lgkmcnt(0)
	v_add_f32_e32 v4, v20, v3
	ds_bpermute_b32 v20, v2, v4
	v_xor_b32_e32 v3, 4, v5
	v_cmp_lt_i32_e32 vcc, v3, v6
	v_cndmask_b32_e32 v3, v5, v3, vcc
	v_lshlrev_b32_e32 v3, 2, v3
	s_waitcnt lgkmcnt(0)
	v_add_f32_e32 v20, v4, v20
	;; [unrolled: 7-line block ×4, first 2 shown]
	ds_bpermute_b32 v21, v6, v20
	v_lshrrev_b32_e32 v5, 5, v0
	v_and_b32_e32 v22, 31, v0
	v_cmp_eq_u32_e32 vcc, 0, v22
	v_lshlrev_b32_e32 v5, 2, v5
	s_and_saveexec_b64 s[2:3], vcc
	s_cbranch_execz .LBB13_4
; %bb.3:
	s_waitcnt lgkmcnt(0)
	v_add_f32_e32 v20, v20, v21
	ds_write_b32 v5, v20
.LBB13_4:
	s_or_b64 exec, exec, s[2:3]
	ds_bpermute_b32 v20, v1, v19
	s_waitcnt lgkmcnt(0)
	v_add_f32_e32 v19, v19, v20
	ds_bpermute_b32 v20, v2, v19
	s_waitcnt lgkmcnt(0)
	v_add_f32_e32 v19, v19, v20
	ds_bpermute_b32 v20, v3, v19
	s_waitcnt lgkmcnt(0)
	v_add_f32_e32 v19, v19, v20
	ds_bpermute_b32 v20, v4, v19
	s_waitcnt lgkmcnt(0)
	v_add_f32_e32 v19, v19, v20
	ds_bpermute_b32 v20, v6, v19
	s_and_saveexec_b64 s[2:3], vcc
	s_cbranch_execz .LBB13_6
; %bb.5:
	s_waitcnt lgkmcnt(0)
	v_add_f32_e32 v19, v19, v20
	ds_write_b32 v5, v19 offset:16
.LBB13_6:
	s_or_b64 exec, exec, s[2:3]
	ds_bpermute_b32 v19, v1, v18
	s_waitcnt lgkmcnt(0)
	v_add_f32_e32 v18, v18, v19
	ds_bpermute_b32 v19, v2, v18
	s_waitcnt lgkmcnt(0)
	v_add_f32_e32 v18, v18, v19
	ds_bpermute_b32 v19, v3, v18
	s_waitcnt lgkmcnt(0)
	v_add_f32_e32 v18, v18, v19
	ds_bpermute_b32 v19, v4, v18
	s_waitcnt lgkmcnt(0)
	v_add_f32_e32 v18, v18, v19
	ds_bpermute_b32 v19, v6, v18
	s_and_saveexec_b64 s[2:3], vcc
	s_cbranch_execz .LBB13_8
; %bb.7:
	s_waitcnt lgkmcnt(0)
	v_add_f32_e32 v18, v18, v19
	ds_write_b32 v5, v18 offset:32
.LBB13_8:
	;; [unrolled: 21-line block ×13, first 2 shown]
	s_or_b64 exec, exec, s[2:3]
	v_cmp_eq_u32_e32 vcc, 0, v0
	s_waitcnt lgkmcnt(0)
	s_barrier
	s_and_saveexec_b64 s[2:3], vcc
	s_cbranch_execz .LBB13_32
; %bb.31:
	v_mov_b32_e32 v16, 0
	ds_read_b128 v[0:3], v16
	s_ashr_i32 s7, s6, 31
	ds_read_b128 v[4:7], v16 offset:16
	ds_read_b128 v[8:11], v16 offset:32
	;; [unrolled: 1-line block ×3, first 2 shown]
	s_lshl_b64 s[2:3], s[6:7], 2
	s_add_u32 s0, s0, s2
	s_waitcnt lgkmcnt(3)
	v_add_f32_e32 v0, 0, v0
	v_add_f32_e32 v0, v0, v1
	;; [unrolled: 1-line block ×4, first 2 shown]
	s_addc_u32 s1, s1, s3
	global_store_dword v16, v0, s[0:1]
	s_waitcnt lgkmcnt(2)
	v_add_f32_e32 v0, 0, v4
	v_add_f32_e32 v0, v0, v5
	;; [unrolled: 1-line block ×4, first 2 shown]
	global_store_dword v16, v0, s[0:1] offset:1024
	s_waitcnt lgkmcnt(1)
	v_add_f32_e32 v0, 0, v8
	v_add_f32_e32 v0, v0, v9
	;; [unrolled: 1-line block ×4, first 2 shown]
	global_store_dword v16, v0, s[0:1] offset:2048
	s_waitcnt lgkmcnt(0)
	v_add_f32_e32 v0, 0, v12
	v_add_f32_e32 v4, v0, v13
	ds_read_b128 v[0:3], v16 offset:64
	v_add_f32_e32 v4, v4, v14
	v_add_f32_e32 v4, v4, v15
	global_store_dword v16, v4, s[0:1] offset:3072
	ds_read_b128 v[4:7], v16 offset:80
	s_waitcnt lgkmcnt(1)
	v_add_f32_e32 v0, 0, v0
	v_add_f32_e32 v0, v0, v1
	;; [unrolled: 1-line block ×4, first 2 shown]
	v_mov_b32_e32 v8, 0x1000
	global_store_dword v8, v0, s[0:1]
	s_waitcnt lgkmcnt(0)
	v_add_f32_e32 v0, 0, v4
	v_add_f32_e32 v4, v0, v5
	ds_read_b128 v[0:3], v16 offset:96
	v_add_f32_e32 v4, v4, v6
	v_add_f32_e32 v4, v4, v7
	global_store_dword v8, v4, s[0:1] offset:1024
	ds_read_b128 v[4:7], v16 offset:112
	s_waitcnt lgkmcnt(1)
	v_add_f32_e32 v0, 0, v0
	v_add_f32_e32 v0, v0, v1
	;; [unrolled: 1-line block ×4, first 2 shown]
	global_store_dword v8, v0, s[0:1] offset:2048
	s_waitcnt lgkmcnt(0)
	v_add_f32_e32 v0, 0, v4
	v_add_f32_e32 v4, v0, v5
	ds_read_b128 v[0:3], v16 offset:128
	v_add_f32_e32 v4, v4, v6
	v_add_f32_e32 v4, v4, v7
	global_store_dword v8, v4, s[0:1] offset:3072
	ds_read_b128 v[4:7], v16 offset:144
	s_waitcnt lgkmcnt(1)
	v_add_f32_e32 v0, 0, v0
	v_add_f32_e32 v0, v0, v1
	;; [unrolled: 1-line block ×4, first 2 shown]
	v_mov_b32_e32 v12, 0x2000
	global_store_dword v12, v0, s[0:1]
	ds_read_b128 v[0:3], v16 offset:160
	ds_read_b128 v[8:11], v16 offset:176
	s_waitcnt lgkmcnt(2)
	v_add_f32_e32 v4, 0, v4
	v_add_f32_e32 v4, v4, v5
	;; [unrolled: 1-line block ×3, first 2 shown]
	s_waitcnt lgkmcnt(1)
	v_add_f32_e32 v0, 0, v0
	v_add_f32_e32 v0, v0, v1
	;; [unrolled: 1-line block ×5, first 2 shown]
	global_store_dword v12, v0, s[0:1] offset:2048
	s_waitcnt lgkmcnt(0)
	v_add_f32_e32 v0, 0, v8
	global_store_dword v12, v4, s[0:1] offset:1024
	v_add_f32_e32 v4, v0, v9
	ds_read_b128 v[0:3], v16 offset:192
	v_add_f32_e32 v4, v4, v10
	v_add_f32_e32 v4, v4, v11
	global_store_dword v12, v4, s[0:1] offset:3072
	ds_read_b128 v[4:7], v16 offset:208
	s_waitcnt lgkmcnt(1)
	v_add_f32_e32 v0, 0, v0
	v_add_f32_e32 v0, v0, v1
	;; [unrolled: 1-line block ×4, first 2 shown]
	v_mov_b32_e32 v1, 0x3000
	global_store_dword v1, v0, s[0:1]
	s_waitcnt lgkmcnt(0)
	v_add_f32_e32 v0, 0, v4
	v_add_f32_e32 v0, v0, v5
	;; [unrolled: 1-line block ×4, first 2 shown]
	global_store_dword v1, v0, s[0:1] offset:1024
.LBB13_32:
	s_endpgm
	.section	.rodata,"a",@progbits
	.p2align	6, 0x0
	.amdhsa_kernel _Z23fp32_router_gemm_kernelIfLi128ELi14ELi256ELi3072EEvPfPKT_PKf
		.amdhsa_group_segment_fixed_size 224
		.amdhsa_private_segment_fixed_size 0
		.amdhsa_kernarg_size 24
		.amdhsa_user_sgpr_count 6
		.amdhsa_user_sgpr_private_segment_buffer 1
		.amdhsa_user_sgpr_dispatch_ptr 0
		.amdhsa_user_sgpr_queue_ptr 0
		.amdhsa_user_sgpr_kernarg_segment_ptr 1
		.amdhsa_user_sgpr_dispatch_id 0
		.amdhsa_user_sgpr_flat_scratch_init 0
		.amdhsa_user_sgpr_kernarg_preload_length 0
		.amdhsa_user_sgpr_kernarg_preload_offset 0
		.amdhsa_user_sgpr_private_segment_size 0
		.amdhsa_uses_dynamic_stack 0
		.amdhsa_system_sgpr_private_segment_wavefront_offset 0
		.amdhsa_system_sgpr_workgroup_id_x 1
		.amdhsa_system_sgpr_workgroup_id_y 0
		.amdhsa_system_sgpr_workgroup_id_z 0
		.amdhsa_system_sgpr_workgroup_info 0
		.amdhsa_system_vgpr_workitem_id 0
		.amdhsa_next_free_vgpr 40
		.amdhsa_next_free_sgpr 22
		.amdhsa_accum_offset 40
		.amdhsa_reserve_vcc 1
		.amdhsa_reserve_flat_scratch 0
		.amdhsa_float_round_mode_32 0
		.amdhsa_float_round_mode_16_64 0
		.amdhsa_float_denorm_mode_32 3
		.amdhsa_float_denorm_mode_16_64 3
		.amdhsa_dx10_clamp 1
		.amdhsa_ieee_mode 1
		.amdhsa_fp16_overflow 0
		.amdhsa_tg_split 0
		.amdhsa_exception_fp_ieee_invalid_op 0
		.amdhsa_exception_fp_denorm_src 0
		.amdhsa_exception_fp_ieee_div_zero 0
		.amdhsa_exception_fp_ieee_overflow 0
		.amdhsa_exception_fp_ieee_underflow 0
		.amdhsa_exception_fp_ieee_inexact 0
		.amdhsa_exception_int_div_zero 0
	.end_amdhsa_kernel
	.section	.text._Z23fp32_router_gemm_kernelIfLi128ELi14ELi256ELi3072EEvPfPKT_PKf,"axG",@progbits,_Z23fp32_router_gemm_kernelIfLi128ELi14ELi256ELi3072EEvPfPKT_PKf,comdat
.Lfunc_end13:
	.size	_Z23fp32_router_gemm_kernelIfLi128ELi14ELi256ELi3072EEvPfPKT_PKf, .Lfunc_end13-_Z23fp32_router_gemm_kernelIfLi128ELi14ELi256ELi3072EEvPfPKT_PKf
                                        ; -- End function
	.section	.AMDGPU.csdata,"",@progbits
; Kernel info:
; codeLenInByte = 2948
; NumSgprs: 26
; NumVgprs: 40
; NumAgprs: 0
; TotalNumVgprs: 40
; ScratchSize: 0
; MemoryBound: 0
; FloatMode: 240
; IeeeMode: 1
; LDSByteSize: 224 bytes/workgroup (compile time only)
; SGPRBlocks: 3
; VGPRBlocks: 4
; NumSGPRsForWavesPerEU: 26
; NumVGPRsForWavesPerEU: 40
; AccumOffset: 40
; Occupancy: 8
; WaveLimiterHint : 1
; COMPUTE_PGM_RSRC2:SCRATCH_EN: 0
; COMPUTE_PGM_RSRC2:USER_SGPR: 6
; COMPUTE_PGM_RSRC2:TRAP_HANDLER: 0
; COMPUTE_PGM_RSRC2:TGID_X_EN: 1
; COMPUTE_PGM_RSRC2:TGID_Y_EN: 0
; COMPUTE_PGM_RSRC2:TGID_Z_EN: 0
; COMPUTE_PGM_RSRC2:TIDIG_COMP_CNT: 0
; COMPUTE_PGM_RSRC3_GFX90A:ACCUM_OFFSET: 9
; COMPUTE_PGM_RSRC3_GFX90A:TG_SPLIT: 0
	.section	.text._Z23fp32_router_gemm_kernelIfLi128ELi15ELi256ELi3072EEvPfPKT_PKf,"axG",@progbits,_Z23fp32_router_gemm_kernelIfLi128ELi15ELi256ELi3072EEvPfPKT_PKf,comdat
	.protected	_Z23fp32_router_gemm_kernelIfLi128ELi15ELi256ELi3072EEvPfPKT_PKf ; -- Begin function _Z23fp32_router_gemm_kernelIfLi128ELi15ELi256ELi3072EEvPfPKT_PKf
	.globl	_Z23fp32_router_gemm_kernelIfLi128ELi15ELi256ELi3072EEvPfPKT_PKf
	.p2align	8
	.type	_Z23fp32_router_gemm_kernelIfLi128ELi15ELi256ELi3072EEvPfPKT_PKf,@function
_Z23fp32_router_gemm_kernelIfLi128ELi15ELi256ELi3072EEvPfPKT_PKf: ; @_Z23fp32_router_gemm_kernelIfLi128ELi15ELi256ELi3072EEvPfPKT_PKf
; %bb.0:
	s_load_dwordx4 s[0:3], s[4:5], 0x0
	s_load_dwordx2 s[8:9], s[4:5], 0x10
	s_mul_i32 s4, s6, 0xc00
	s_ashr_i32 s5, s4, 31
	s_lshl_b64 s[4:5], s[4:5], 2
	v_lshlrev_b32_e32 v2, 2, v0
	s_waitcnt lgkmcnt(0)
	s_add_u32 s4, s8, s4
	v_or_b32_e32 v1, 0x200, v2
	v_or_b32_e32 v4, 0x400, v2
	;; [unrolled: 1-line block ×5, first 2 shown]
	s_addc_u32 s5, s9, s5
	s_mov_b64 s[8:9], 0
	v_mov_b32_e32 v21, 0
	v_mov_b32_e32 v22, s3
	s_movk_i32 s7, 0x3000
	s_movk_i32 s10, 0x6000
	s_mov_b32 s11, 0x9000
	s_mov_b32 s12, 0xc000
	;; [unrolled: 1-line block ×12, first 2 shown]
	v_mov_b32_e32 v20, 0
	v_mov_b32_e32 v19, 0
	;; [unrolled: 1-line block ×14, first 2 shown]
.LBB14_1:                               ; =>This Inner Loop Header: Depth=1
	s_cmp_eq_u32 s8, 1
	s_cselect_b64 vcc, -1, 0
	s_cmp_eq_u32 s8, 2
	v_cndmask_b32_e32 v23, v2, v1, vcc
	s_cselect_b64 vcc, -1, 0
	s_cmp_eq_u32 s8, 3
	v_cndmask_b32_e32 v23, v23, v4, vcc
	;; [unrolled: 3-line block ×4, first 2 shown]
	s_cselect_b64 vcc, -1, 0
	v_cndmask_b32_e32 v23, v23, v5, vcc
	v_lshlrev_b32_e32 v23, 2, v23
	global_load_dwordx4 v[24:27], v23, s[2:3]
	global_load_dwordx4 v[28:31], v23, s[4:5]
	v_add_co_u32_e32 v23, vcc, s2, v23
	v_addc_co_u32_e32 v40, vcc, 0, v22, vcc
	v_add_co_u32_e32 v36, vcc, s7, v23
	v_addc_co_u32_e32 v37, vcc, 0, v40, vcc
	;; [unrolled: 2-line block ×3, first 2 shown]
	s_add_u32 s8, s8, 1
	s_addc_u32 s9, s9, 0
	s_cmp_eq_u32 s8, 6
	s_waitcnt vmcnt(0)
	v_fmac_f32_e32 v21, v24, v28
	v_fmac_f32_e32 v21, v25, v29
	v_fmac_f32_e32 v21, v26, v30
	v_fmac_f32_e32 v21, v27, v31
	global_load_dwordx4 v[24:27], v[36:37], off
	global_load_dwordx4 v[32:35], v[38:39], off
	v_add_co_u32_e32 v36, vcc, s11, v23
	v_addc_co_u32_e32 v37, vcc, 0, v40, vcc
	v_add_co_u32_e32 v38, vcc, s12, v23
	v_addc_co_u32_e32 v39, vcc, 0, v40, vcc
	s_waitcnt vmcnt(1)
	v_fmac_f32_e32 v20, v24, v28
	s_waitcnt vmcnt(0)
	v_fmac_f32_e32 v19, v32, v28
	v_fmac_f32_e32 v20, v25, v29
	v_fmac_f32_e32 v19, v33, v29
	v_fmac_f32_e32 v20, v26, v30
	v_fmac_f32_e32 v19, v34, v30
	v_fmac_f32_e32 v20, v27, v31
	v_fmac_f32_e32 v19, v35, v31
	global_load_dwordx4 v[24:27], v[36:37], off
	global_load_dwordx4 v[32:35], v[38:39], off
	v_add_co_u32_e32 v36, vcc, s13, v23
	v_addc_co_u32_e32 v37, vcc, 0, v40, vcc
	v_add_co_u32_e32 v38, vcc, s14, v23
	v_addc_co_u32_e32 v39, vcc, 0, v40, vcc
	s_waitcnt vmcnt(1)
	v_fmac_f32_e32 v18, v24, v28
	s_waitcnt vmcnt(0)
	v_fmac_f32_e32 v17, v32, v28
	v_fmac_f32_e32 v18, v25, v29
	v_fmac_f32_e32 v17, v33, v29
	;; [unrolled: 16-line block ×6, first 2 shown]
	v_fmac_f32_e32 v10, v26, v30
	v_fmac_f32_e32 v9, v34, v30
	;; [unrolled: 1-line block ×4, first 2 shown]
	global_load_dwordx4 v[24:27], v[36:37], off
	global_load_dwordx4 v[32:35], v[38:39], off
	s_waitcnt vmcnt(1)
	v_fmac_f32_e32 v8, v24, v28
	v_fmac_f32_e32 v8, v25, v29
	s_waitcnt vmcnt(0)
	v_pk_mul_f32 v[24:25], v[32:33], v[28:29]
	v_fmac_f32_e32 v8, v26, v30
	v_add_f32_e32 v7, v7, v24
	v_fmac_f32_e32 v8, v27, v31
	v_pk_mul_f32 v[26:27], v[34:35], v[30:31]
	v_add_f32_e32 v7, v7, v25
	v_add_f32_e32 v7, v7, v26
	;; [unrolled: 1-line block ×3, first 2 shown]
	s_cbranch_scc0 .LBB14_1
; %bb.2:
	v_mbcnt_lo_u32_b32 v1, -1, 0
	v_mbcnt_hi_u32_b32 v5, -1, v1
	v_and_b32_e32 v2, 64, v5
	v_xor_b32_e32 v1, 16, v5
	v_add_u32_e32 v6, 64, v2
	v_cmp_lt_i32_e32 vcc, v1, v6
	v_cndmask_b32_e32 v1, v5, v1, vcc
	v_lshlrev_b32_e32 v1, 2, v1
	ds_bpermute_b32 v3, v1, v21
	v_xor_b32_e32 v2, 8, v5
	v_cmp_lt_i32_e32 vcc, v2, v6
	v_cndmask_b32_e32 v2, v5, v2, vcc
	v_lshlrev_b32_e32 v2, 2, v2
	s_waitcnt lgkmcnt(0)
	v_add_f32_e32 v4, v21, v3
	ds_bpermute_b32 v21, v2, v4
	v_xor_b32_e32 v3, 4, v5
	v_cmp_lt_i32_e32 vcc, v3, v6
	v_cndmask_b32_e32 v3, v5, v3, vcc
	v_lshlrev_b32_e32 v3, 2, v3
	s_waitcnt lgkmcnt(0)
	v_add_f32_e32 v21, v4, v21
	ds_bpermute_b32 v22, v3, v21
	v_xor_b32_e32 v4, 2, v5
	v_cmp_lt_i32_e32 vcc, v4, v6
	v_cndmask_b32_e32 v4, v5, v4, vcc
	v_lshlrev_b32_e32 v4, 2, v4
	s_waitcnt lgkmcnt(0)
	v_add_f32_e32 v21, v21, v22
	ds_bpermute_b32 v22, v4, v21
	v_xor_b32_e32 v23, 1, v5
	v_cmp_lt_i32_e32 vcc, v23, v6
	v_cndmask_b32_e32 v5, v5, v23, vcc
	v_lshlrev_b32_e32 v6, 2, v5
	s_waitcnt lgkmcnt(0)
	v_add_f32_e32 v21, v21, v22
	ds_bpermute_b32 v22, v6, v21
	v_lshrrev_b32_e32 v5, 5, v0
	v_and_b32_e32 v23, 31, v0
	v_cmp_eq_u32_e32 vcc, 0, v23
	v_lshlrev_b32_e32 v5, 2, v5
	s_and_saveexec_b64 s[2:3], vcc
	s_cbranch_execz .LBB14_4
; %bb.3:
	s_waitcnt lgkmcnt(0)
	v_add_f32_e32 v21, v21, v22
	ds_write_b32 v5, v21
.LBB14_4:
	s_or_b64 exec, exec, s[2:3]
	ds_bpermute_b32 v21, v1, v20
	s_waitcnt lgkmcnt(0)
	v_add_f32_e32 v20, v20, v21
	ds_bpermute_b32 v21, v2, v20
	s_waitcnt lgkmcnt(0)
	v_add_f32_e32 v20, v20, v21
	ds_bpermute_b32 v21, v3, v20
	s_waitcnt lgkmcnt(0)
	v_add_f32_e32 v20, v20, v21
	ds_bpermute_b32 v21, v4, v20
	s_waitcnt lgkmcnt(0)
	v_add_f32_e32 v20, v20, v21
	ds_bpermute_b32 v21, v6, v20
	s_and_saveexec_b64 s[2:3], vcc
	s_cbranch_execz .LBB14_6
; %bb.5:
	s_waitcnt lgkmcnt(0)
	v_add_f32_e32 v20, v20, v21
	ds_write_b32 v5, v20 offset:16
.LBB14_6:
	s_or_b64 exec, exec, s[2:3]
	ds_bpermute_b32 v20, v1, v19
	s_waitcnt lgkmcnt(0)
	v_add_f32_e32 v19, v19, v20
	ds_bpermute_b32 v20, v2, v19
	s_waitcnt lgkmcnt(0)
	v_add_f32_e32 v19, v19, v20
	ds_bpermute_b32 v20, v3, v19
	s_waitcnt lgkmcnt(0)
	v_add_f32_e32 v19, v19, v20
	ds_bpermute_b32 v20, v4, v19
	s_waitcnt lgkmcnt(0)
	v_add_f32_e32 v19, v19, v20
	ds_bpermute_b32 v20, v6, v19
	s_and_saveexec_b64 s[2:3], vcc
	s_cbranch_execz .LBB14_8
; %bb.7:
	s_waitcnt lgkmcnt(0)
	v_add_f32_e32 v19, v19, v20
	ds_write_b32 v5, v19 offset:32
.LBB14_8:
	;; [unrolled: 21-line block ×14, first 2 shown]
	s_or_b64 exec, exec, s[2:3]
	v_cmp_eq_u32_e32 vcc, 0, v0
	s_waitcnt lgkmcnt(0)
	s_barrier
	s_and_saveexec_b64 s[2:3], vcc
	s_cbranch_execz .LBB14_34
; %bb.33:
	v_mov_b32_e32 v16, 0
	ds_read_b128 v[0:3], v16
	s_ashr_i32 s7, s6, 31
	ds_read_b128 v[4:7], v16 offset:16
	ds_read_b128 v[8:11], v16 offset:32
	;; [unrolled: 1-line block ×3, first 2 shown]
	s_lshl_b64 s[2:3], s[6:7], 2
	s_add_u32 s0, s0, s2
	s_waitcnt lgkmcnt(3)
	v_add_f32_e32 v0, 0, v0
	v_add_f32_e32 v0, v0, v1
	;; [unrolled: 1-line block ×4, first 2 shown]
	s_addc_u32 s1, s1, s3
	global_store_dword v16, v0, s[0:1]
	s_waitcnt lgkmcnt(2)
	v_add_f32_e32 v0, 0, v4
	v_add_f32_e32 v0, v0, v5
	;; [unrolled: 1-line block ×4, first 2 shown]
	global_store_dword v16, v0, s[0:1] offset:1024
	s_waitcnt lgkmcnt(1)
	v_add_f32_e32 v0, 0, v8
	v_add_f32_e32 v0, v0, v9
	;; [unrolled: 1-line block ×4, first 2 shown]
	global_store_dword v16, v0, s[0:1] offset:2048
	s_waitcnt lgkmcnt(0)
	v_add_f32_e32 v0, 0, v12
	v_add_f32_e32 v4, v0, v13
	ds_read_b128 v[0:3], v16 offset:64
	v_add_f32_e32 v4, v4, v14
	v_add_f32_e32 v4, v4, v15
	global_store_dword v16, v4, s[0:1] offset:3072
	ds_read_b128 v[4:7], v16 offset:80
	s_waitcnt lgkmcnt(1)
	v_add_f32_e32 v0, 0, v0
	v_add_f32_e32 v0, v0, v1
	;; [unrolled: 1-line block ×4, first 2 shown]
	v_mov_b32_e32 v8, 0x1000
	global_store_dword v8, v0, s[0:1]
	s_waitcnt lgkmcnt(0)
	v_add_f32_e32 v0, 0, v4
	v_add_f32_e32 v4, v0, v5
	ds_read_b128 v[0:3], v16 offset:96
	v_add_f32_e32 v4, v4, v6
	v_add_f32_e32 v4, v4, v7
	global_store_dword v8, v4, s[0:1] offset:1024
	ds_read_b128 v[4:7], v16 offset:112
	s_waitcnt lgkmcnt(1)
	v_add_f32_e32 v0, 0, v0
	v_add_f32_e32 v0, v0, v1
	;; [unrolled: 1-line block ×4, first 2 shown]
	global_store_dword v8, v0, s[0:1] offset:2048
	s_waitcnt lgkmcnt(0)
	v_add_f32_e32 v0, 0, v4
	v_add_f32_e32 v4, v0, v5
	ds_read_b128 v[0:3], v16 offset:128
	v_add_f32_e32 v4, v4, v6
	v_add_f32_e32 v4, v4, v7
	global_store_dword v8, v4, s[0:1] offset:3072
	ds_read_b128 v[4:7], v16 offset:144
	s_waitcnt lgkmcnt(1)
	v_add_f32_e32 v0, 0, v0
	v_add_f32_e32 v0, v0, v1
	;; [unrolled: 1-line block ×4, first 2 shown]
	v_mov_b32_e32 v12, 0x2000
	global_store_dword v12, v0, s[0:1]
	ds_read_b128 v[0:3], v16 offset:160
	ds_read_b128 v[8:11], v16 offset:176
	s_waitcnt lgkmcnt(2)
	v_add_f32_e32 v4, 0, v4
	v_add_f32_e32 v4, v4, v5
	v_add_f32_e32 v4, v4, v6
	s_waitcnt lgkmcnt(1)
	v_add_f32_e32 v0, 0, v0
	v_add_f32_e32 v0, v0, v1
	;; [unrolled: 1-line block ×5, first 2 shown]
	global_store_dword v12, v0, s[0:1] offset:2048
	s_waitcnt lgkmcnt(0)
	v_add_f32_e32 v0, 0, v8
	global_store_dword v12, v4, s[0:1] offset:1024
	v_add_f32_e32 v4, v0, v9
	ds_read_b128 v[0:3], v16 offset:192
	v_add_f32_e32 v4, v4, v10
	v_add_f32_e32 v4, v4, v11
	global_store_dword v12, v4, s[0:1] offset:3072
	ds_read_b128 v[4:7], v16 offset:208
	s_waitcnt lgkmcnt(1)
	v_add_f32_e32 v0, 0, v0
	v_add_f32_e32 v0, v0, v1
	;; [unrolled: 1-line block ×4, first 2 shown]
	v_mov_b32_e32 v8, 0x3000
	global_store_dword v8, v0, s[0:1]
	ds_read_b128 v[0:3], v16 offset:224
	s_waitcnt lgkmcnt(1)
	v_add_f32_e32 v4, 0, v4
	v_add_f32_e32 v4, v4, v5
	;; [unrolled: 1-line block ×4, first 2 shown]
	s_waitcnt lgkmcnt(0)
	v_add_f32_e32 v0, 0, v0
	v_add_f32_e32 v0, v0, v1
	;; [unrolled: 1-line block ×4, first 2 shown]
	global_store_dword v8, v4, s[0:1] offset:1024
	global_store_dword v8, v0, s[0:1] offset:2048
.LBB14_34:
	s_endpgm
	.section	.rodata,"a",@progbits
	.p2align	6, 0x0
	.amdhsa_kernel _Z23fp32_router_gemm_kernelIfLi128ELi15ELi256ELi3072EEvPfPKT_PKf
		.amdhsa_group_segment_fixed_size 240
		.amdhsa_private_segment_fixed_size 0
		.amdhsa_kernarg_size 24
		.amdhsa_user_sgpr_count 6
		.amdhsa_user_sgpr_private_segment_buffer 1
		.amdhsa_user_sgpr_dispatch_ptr 0
		.amdhsa_user_sgpr_queue_ptr 0
		.amdhsa_user_sgpr_kernarg_segment_ptr 1
		.amdhsa_user_sgpr_dispatch_id 0
		.amdhsa_user_sgpr_flat_scratch_init 0
		.amdhsa_user_sgpr_kernarg_preload_length 0
		.amdhsa_user_sgpr_kernarg_preload_offset 0
		.amdhsa_user_sgpr_private_segment_size 0
		.amdhsa_uses_dynamic_stack 0
		.amdhsa_system_sgpr_private_segment_wavefront_offset 0
		.amdhsa_system_sgpr_workgroup_id_x 1
		.amdhsa_system_sgpr_workgroup_id_y 0
		.amdhsa_system_sgpr_workgroup_id_z 0
		.amdhsa_system_sgpr_workgroup_info 0
		.amdhsa_system_vgpr_workitem_id 0
		.amdhsa_next_free_vgpr 41
		.amdhsa_next_free_sgpr 23
		.amdhsa_accum_offset 44
		.amdhsa_reserve_vcc 1
		.amdhsa_reserve_flat_scratch 0
		.amdhsa_float_round_mode_32 0
		.amdhsa_float_round_mode_16_64 0
		.amdhsa_float_denorm_mode_32 3
		.amdhsa_float_denorm_mode_16_64 3
		.amdhsa_dx10_clamp 1
		.amdhsa_ieee_mode 1
		.amdhsa_fp16_overflow 0
		.amdhsa_tg_split 0
		.amdhsa_exception_fp_ieee_invalid_op 0
		.amdhsa_exception_fp_denorm_src 0
		.amdhsa_exception_fp_ieee_div_zero 0
		.amdhsa_exception_fp_ieee_overflow 0
		.amdhsa_exception_fp_ieee_underflow 0
		.amdhsa_exception_fp_ieee_inexact 0
		.amdhsa_exception_int_div_zero 0
	.end_amdhsa_kernel
	.section	.text._Z23fp32_router_gemm_kernelIfLi128ELi15ELi256ELi3072EEvPfPKT_PKf,"axG",@progbits,_Z23fp32_router_gemm_kernelIfLi128ELi15ELi256ELi3072EEvPfPKT_PKf,comdat
.Lfunc_end14:
	.size	_Z23fp32_router_gemm_kernelIfLi128ELi15ELi256ELi3072EEvPfPKT_PKf, .Lfunc_end14-_Z23fp32_router_gemm_kernelIfLi128ELi15ELi256ELi3072EEvPfPKT_PKf
                                        ; -- End function
	.section	.AMDGPU.csdata,"",@progbits
; Kernel info:
; codeLenInByte = 3132
; NumSgprs: 27
; NumVgprs: 41
; NumAgprs: 0
; TotalNumVgprs: 41
; ScratchSize: 0
; MemoryBound: 0
; FloatMode: 240
; IeeeMode: 1
; LDSByteSize: 240 bytes/workgroup (compile time only)
; SGPRBlocks: 3
; VGPRBlocks: 5
; NumSGPRsForWavesPerEU: 27
; NumVGPRsForWavesPerEU: 41
; AccumOffset: 44
; Occupancy: 8
; WaveLimiterHint : 1
; COMPUTE_PGM_RSRC2:SCRATCH_EN: 0
; COMPUTE_PGM_RSRC2:USER_SGPR: 6
; COMPUTE_PGM_RSRC2:TRAP_HANDLER: 0
; COMPUTE_PGM_RSRC2:TGID_X_EN: 1
; COMPUTE_PGM_RSRC2:TGID_Y_EN: 0
; COMPUTE_PGM_RSRC2:TGID_Z_EN: 0
; COMPUTE_PGM_RSRC2:TIDIG_COMP_CNT: 0
; COMPUTE_PGM_RSRC3_GFX90A:ACCUM_OFFSET: 10
; COMPUTE_PGM_RSRC3_GFX90A:TG_SPLIT: 0
	.section	.text._Z23fp32_router_gemm_kernelIfLi128ELi16ELi256ELi3072EEvPfPKT_PKf,"axG",@progbits,_Z23fp32_router_gemm_kernelIfLi128ELi16ELi256ELi3072EEvPfPKT_PKf,comdat
	.protected	_Z23fp32_router_gemm_kernelIfLi128ELi16ELi256ELi3072EEvPfPKT_PKf ; -- Begin function _Z23fp32_router_gemm_kernelIfLi128ELi16ELi256ELi3072EEvPfPKT_PKf
	.globl	_Z23fp32_router_gemm_kernelIfLi128ELi16ELi256ELi3072EEvPfPKT_PKf
	.p2align	8
	.type	_Z23fp32_router_gemm_kernelIfLi128ELi16ELi256ELi3072EEvPfPKT_PKf,@function
_Z23fp32_router_gemm_kernelIfLi128ELi16ELi256ELi3072EEvPfPKT_PKf: ; @_Z23fp32_router_gemm_kernelIfLi128ELi16ELi256ELi3072EEvPfPKT_PKf
; %bb.0:
	s_load_dwordx4 s[0:3], s[4:5], 0x0
	s_load_dwordx2 s[8:9], s[4:5], 0x10
	s_mul_i32 s4, s6, 0xc00
	s_ashr_i32 s5, s4, 31
	s_lshl_b64 s[4:5], s[4:5], 2
	v_lshlrev_b32_e32 v2, 2, v0
	s_waitcnt lgkmcnt(0)
	s_add_u32 s4, s8, s4
	v_or_b32_e32 v1, 0x200, v2
	v_or_b32_e32 v4, 0x400, v2
	;; [unrolled: 1-line block ×5, first 2 shown]
	s_addc_u32 s5, s9, s5
	s_mov_b64 s[8:9], 0
	v_mov_b32_e32 v22, 0
	v_mov_b32_e32 v23, s3
	s_movk_i32 s7, 0x3000
	s_movk_i32 s10, 0x6000
	s_mov_b32 s11, 0x9000
	s_mov_b32 s12, 0xc000
	;; [unrolled: 1-line block ×13, first 2 shown]
	v_mov_b32_e32 v21, 0
	v_mov_b32_e32 v20, 0
	;; [unrolled: 1-line block ×15, first 2 shown]
.LBB15_1:                               ; =>This Inner Loop Header: Depth=1
	s_cmp_eq_u32 s8, 1
	s_cselect_b64 vcc, -1, 0
	s_cmp_eq_u32 s8, 2
	v_cndmask_b32_e32 v24, v2, v1, vcc
	s_cselect_b64 vcc, -1, 0
	s_cmp_eq_u32 s8, 3
	v_cndmask_b32_e32 v24, v24, v4, vcc
	;; [unrolled: 3-line block ×4, first 2 shown]
	s_cselect_b64 vcc, -1, 0
	v_cndmask_b32_e32 v24, v24, v5, vcc
	v_lshlrev_b32_e32 v32, 2, v24
	global_load_dwordx4 v[24:27], v32, s[2:3]
	global_load_dwordx4 v[28:31], v32, s[4:5]
	v_add_co_u32_e32 v40, vcc, s2, v32
	v_addc_co_u32_e32 v41, vcc, 0, v23, vcc
	v_add_co_u32_e32 v36, vcc, s7, v40
	v_addc_co_u32_e32 v37, vcc, 0, v41, vcc
	;; [unrolled: 2-line block ×3, first 2 shown]
	s_add_u32 s8, s8, 1
	s_addc_u32 s9, s9, 0
	s_cmp_eq_u32 s8, 6
	s_waitcnt vmcnt(0)
	v_fmac_f32_e32 v22, v24, v28
	v_fmac_f32_e32 v22, v25, v29
	v_fmac_f32_e32 v22, v26, v30
	v_fmac_f32_e32 v22, v27, v31
	global_load_dwordx4 v[24:27], v[36:37], off
	global_load_dwordx4 v[32:35], v[38:39], off
	v_add_co_u32_e32 v36, vcc, s11, v40
	v_addc_co_u32_e32 v37, vcc, 0, v41, vcc
	v_add_co_u32_e32 v38, vcc, s12, v40
	v_addc_co_u32_e32 v39, vcc, 0, v41, vcc
	s_waitcnt vmcnt(1)
	v_fmac_f32_e32 v21, v24, v28
	s_waitcnt vmcnt(0)
	v_fmac_f32_e32 v20, v32, v28
	v_fmac_f32_e32 v21, v25, v29
	v_fmac_f32_e32 v20, v33, v29
	v_fmac_f32_e32 v21, v26, v30
	v_fmac_f32_e32 v20, v34, v30
	v_fmac_f32_e32 v21, v27, v31
	v_fmac_f32_e32 v20, v35, v31
	global_load_dwordx4 v[24:27], v[36:37], off
	global_load_dwordx4 v[32:35], v[38:39], off
	v_add_co_u32_e32 v36, vcc, s13, v40
	v_addc_co_u32_e32 v37, vcc, 0, v41, vcc
	v_add_co_u32_e32 v38, vcc, s14, v40
	v_addc_co_u32_e32 v39, vcc, 0, v41, vcc
	s_waitcnt vmcnt(1)
	v_fmac_f32_e32 v19, v24, v28
	s_waitcnt vmcnt(0)
	v_fmac_f32_e32 v18, v32, v28
	v_fmac_f32_e32 v19, v25, v29
	v_fmac_f32_e32 v18, v33, v29
	;; [unrolled: 16-line block ×6, first 2 shown]
	v_fmac_f32_e32 v11, v26, v30
	v_fmac_f32_e32 v10, v34, v30
	;; [unrolled: 1-line block ×4, first 2 shown]
	global_load_dwordx4 v[24:27], v[36:37], off
	global_load_dwordx4 v[32:35], v[38:39], off
	s_waitcnt vmcnt(1)
	v_fmac_f32_e32 v9, v24, v28
	v_fmac_f32_e32 v9, v25, v29
	v_add_co_u32_e32 v24, vcc, s23, v40
	v_fmac_f32_e32 v9, v26, v30
	v_addc_co_u32_e32 v25, vcc, 0, v41, vcc
	v_fmac_f32_e32 v9, v27, v31
	global_load_dwordx4 v[24:27], v[24:25], off
	s_waitcnt vmcnt(1)
	v_fmac_f32_e32 v8, v32, v28
	v_fmac_f32_e32 v8, v33, v29
	;; [unrolled: 1-line block ×4, first 2 shown]
	s_waitcnt vmcnt(0)
	v_pk_mul_f32 v[24:25], v[24:25], v[28:29]
	v_add_f32_e32 v7, v7, v24
	v_pk_mul_f32 v[26:27], v[26:27], v[30:31]
	v_add_f32_e32 v7, v7, v25
	v_add_f32_e32 v7, v7, v26
	;; [unrolled: 1-line block ×3, first 2 shown]
	s_cbranch_scc0 .LBB15_1
; %bb.2:
	v_mbcnt_lo_u32_b32 v1, -1, 0
	v_mbcnt_hi_u32_b32 v5, -1, v1
	v_and_b32_e32 v2, 64, v5
	v_xor_b32_e32 v1, 16, v5
	v_add_u32_e32 v6, 64, v2
	v_cmp_lt_i32_e32 vcc, v1, v6
	v_cndmask_b32_e32 v1, v5, v1, vcc
	v_lshlrev_b32_e32 v1, 2, v1
	ds_bpermute_b32 v3, v1, v22
	v_xor_b32_e32 v2, 8, v5
	v_cmp_lt_i32_e32 vcc, v2, v6
	v_cndmask_b32_e32 v2, v5, v2, vcc
	v_lshlrev_b32_e32 v2, 2, v2
	s_waitcnt lgkmcnt(0)
	v_add_f32_e32 v4, v22, v3
	ds_bpermute_b32 v22, v2, v4
	v_xor_b32_e32 v3, 4, v5
	v_cmp_lt_i32_e32 vcc, v3, v6
	v_cndmask_b32_e32 v3, v5, v3, vcc
	v_lshlrev_b32_e32 v3, 2, v3
	s_waitcnt lgkmcnt(0)
	v_add_f32_e32 v22, v4, v22
	ds_bpermute_b32 v23, v3, v22
	v_xor_b32_e32 v4, 2, v5
	v_cmp_lt_i32_e32 vcc, v4, v6
	v_cndmask_b32_e32 v4, v5, v4, vcc
	v_lshlrev_b32_e32 v4, 2, v4
	s_waitcnt lgkmcnt(0)
	v_add_f32_e32 v22, v22, v23
	ds_bpermute_b32 v23, v4, v22
	v_xor_b32_e32 v24, 1, v5
	v_cmp_lt_i32_e32 vcc, v24, v6
	v_cndmask_b32_e32 v5, v5, v24, vcc
	v_lshlrev_b32_e32 v6, 2, v5
	s_waitcnt lgkmcnt(0)
	v_add_f32_e32 v22, v22, v23
	ds_bpermute_b32 v23, v6, v22
	v_lshrrev_b32_e32 v5, 5, v0
	v_and_b32_e32 v24, 31, v0
	v_cmp_eq_u32_e32 vcc, 0, v24
	v_lshlrev_b32_e32 v5, 2, v5
	s_and_saveexec_b64 s[2:3], vcc
	s_cbranch_execz .LBB15_4
; %bb.3:
	s_waitcnt lgkmcnt(0)
	v_add_f32_e32 v22, v22, v23
	ds_write_b32 v5, v22
.LBB15_4:
	s_or_b64 exec, exec, s[2:3]
	ds_bpermute_b32 v22, v1, v21
	s_waitcnt lgkmcnt(0)
	v_add_f32_e32 v21, v21, v22
	ds_bpermute_b32 v22, v2, v21
	s_waitcnt lgkmcnt(0)
	v_add_f32_e32 v21, v21, v22
	ds_bpermute_b32 v22, v3, v21
	s_waitcnt lgkmcnt(0)
	v_add_f32_e32 v21, v21, v22
	ds_bpermute_b32 v22, v4, v21
	s_waitcnt lgkmcnt(0)
	v_add_f32_e32 v21, v21, v22
	ds_bpermute_b32 v22, v6, v21
	s_and_saveexec_b64 s[2:3], vcc
	s_cbranch_execz .LBB15_6
; %bb.5:
	s_waitcnt lgkmcnt(0)
	v_add_f32_e32 v21, v21, v22
	ds_write_b32 v5, v21 offset:16
.LBB15_6:
	s_or_b64 exec, exec, s[2:3]
	ds_bpermute_b32 v21, v1, v20
	s_waitcnt lgkmcnt(0)
	v_add_f32_e32 v20, v20, v21
	ds_bpermute_b32 v21, v2, v20
	s_waitcnt lgkmcnt(0)
	v_add_f32_e32 v20, v20, v21
	ds_bpermute_b32 v21, v3, v20
	s_waitcnt lgkmcnt(0)
	v_add_f32_e32 v20, v20, v21
	ds_bpermute_b32 v21, v4, v20
	s_waitcnt lgkmcnt(0)
	v_add_f32_e32 v20, v20, v21
	ds_bpermute_b32 v21, v6, v20
	s_and_saveexec_b64 s[2:3], vcc
	s_cbranch_execz .LBB15_8
; %bb.7:
	s_waitcnt lgkmcnt(0)
	v_add_f32_e32 v20, v20, v21
	ds_write_b32 v5, v20 offset:32
.LBB15_8:
	;; [unrolled: 21-line block ×15, first 2 shown]
	s_or_b64 exec, exec, s[2:3]
	v_cmp_eq_u32_e32 vcc, 0, v0
	s_waitcnt lgkmcnt(0)
	s_barrier
	s_and_saveexec_b64 s[2:3], vcc
	s_cbranch_execz .LBB15_36
; %bb.35:
	v_mov_b32_e32 v16, 0
	ds_read_b128 v[0:3], v16
	s_ashr_i32 s7, s6, 31
	ds_read_b128 v[4:7], v16 offset:16
	ds_read_b128 v[8:11], v16 offset:32
	;; [unrolled: 1-line block ×3, first 2 shown]
	s_lshl_b64 s[2:3], s[6:7], 2
	s_add_u32 s0, s0, s2
	s_waitcnt lgkmcnt(3)
	v_add_f32_e32 v0, 0, v0
	v_add_f32_e32 v0, v0, v1
	;; [unrolled: 1-line block ×4, first 2 shown]
	s_addc_u32 s1, s1, s3
	global_store_dword v16, v0, s[0:1]
	s_waitcnt lgkmcnt(2)
	v_add_f32_e32 v0, 0, v4
	v_add_f32_e32 v0, v0, v5
	;; [unrolled: 1-line block ×4, first 2 shown]
	global_store_dword v16, v0, s[0:1] offset:1024
	s_waitcnt lgkmcnt(1)
	v_add_f32_e32 v0, 0, v8
	v_add_f32_e32 v0, v0, v9
	;; [unrolled: 1-line block ×4, first 2 shown]
	global_store_dword v16, v0, s[0:1] offset:2048
	s_waitcnt lgkmcnt(0)
	v_add_f32_e32 v0, 0, v12
	v_add_f32_e32 v4, v0, v13
	ds_read_b128 v[0:3], v16 offset:64
	v_add_f32_e32 v4, v4, v14
	v_add_f32_e32 v4, v4, v15
	global_store_dword v16, v4, s[0:1] offset:3072
	ds_read_b128 v[4:7], v16 offset:80
	s_waitcnt lgkmcnt(1)
	v_add_f32_e32 v0, 0, v0
	v_add_f32_e32 v0, v0, v1
	;; [unrolled: 1-line block ×4, first 2 shown]
	v_mov_b32_e32 v8, 0x1000
	global_store_dword v8, v0, s[0:1]
	s_waitcnt lgkmcnt(0)
	v_add_f32_e32 v0, 0, v4
	v_add_f32_e32 v4, v0, v5
	ds_read_b128 v[0:3], v16 offset:96
	v_add_f32_e32 v4, v4, v6
	v_add_f32_e32 v4, v4, v7
	global_store_dword v8, v4, s[0:1] offset:1024
	ds_read_b128 v[4:7], v16 offset:112
	s_waitcnt lgkmcnt(1)
	v_add_f32_e32 v0, 0, v0
	v_add_f32_e32 v0, v0, v1
	;; [unrolled: 1-line block ×4, first 2 shown]
	global_store_dword v8, v0, s[0:1] offset:2048
	s_waitcnt lgkmcnt(0)
	v_add_f32_e32 v0, 0, v4
	v_add_f32_e32 v4, v0, v5
	ds_read_b128 v[0:3], v16 offset:128
	v_add_f32_e32 v4, v4, v6
	v_add_f32_e32 v4, v4, v7
	global_store_dword v8, v4, s[0:1] offset:3072
	ds_read_b128 v[4:7], v16 offset:144
	s_waitcnt lgkmcnt(1)
	v_add_f32_e32 v0, 0, v0
	v_add_f32_e32 v0, v0, v1
	;; [unrolled: 1-line block ×4, first 2 shown]
	v_mov_b32_e32 v12, 0x2000
	global_store_dword v12, v0, s[0:1]
	ds_read_b128 v[0:3], v16 offset:160
	ds_read_b128 v[8:11], v16 offset:176
	s_waitcnt lgkmcnt(2)
	v_add_f32_e32 v4, 0, v4
	v_add_f32_e32 v4, v4, v5
	;; [unrolled: 1-line block ×3, first 2 shown]
	s_waitcnt lgkmcnt(1)
	v_add_f32_e32 v0, 0, v0
	v_add_f32_e32 v0, v0, v1
	;; [unrolled: 1-line block ×5, first 2 shown]
	global_store_dword v12, v0, s[0:1] offset:2048
	s_waitcnt lgkmcnt(0)
	v_add_f32_e32 v0, 0, v8
	global_store_dword v12, v4, s[0:1] offset:1024
	v_add_f32_e32 v4, v0, v9
	ds_read_b128 v[0:3], v16 offset:192
	v_add_f32_e32 v4, v4, v10
	v_add_f32_e32 v4, v4, v11
	global_store_dword v12, v4, s[0:1] offset:3072
	ds_read_b128 v[4:7], v16 offset:208
	s_waitcnt lgkmcnt(1)
	v_add_f32_e32 v0, 0, v0
	v_add_f32_e32 v0, v0, v1
	;; [unrolled: 1-line block ×4, first 2 shown]
	v_mov_b32_e32 v8, 0x3000
	global_store_dword v8, v0, s[0:1]
	s_waitcnt lgkmcnt(0)
	v_add_f32_e32 v0, 0, v4
	v_add_f32_e32 v4, v0, v5
	ds_read_b128 v[0:3], v16 offset:224
	v_add_f32_e32 v4, v4, v6
	v_add_f32_e32 v4, v4, v7
	global_store_dword v8, v4, s[0:1] offset:1024
	ds_read_b128 v[4:7], v16 offset:240
	s_waitcnt lgkmcnt(1)
	v_add_f32_e32 v0, 0, v0
	v_add_f32_e32 v0, v0, v1
	;; [unrolled: 1-line block ×4, first 2 shown]
	global_store_dword v8, v0, s[0:1] offset:2048
	s_waitcnt lgkmcnt(0)
	v_add_f32_e32 v0, 0, v4
	v_add_f32_e32 v0, v0, v5
	v_add_f32_e32 v0, v0, v6
	v_add_f32_e32 v0, v0, v7
	global_store_dword v8, v0, s[0:1] offset:3072
.LBB15_36:
	s_endpgm
	.section	.rodata,"a",@progbits
	.p2align	6, 0x0
	.amdhsa_kernel _Z23fp32_router_gemm_kernelIfLi128ELi16ELi256ELi3072EEvPfPKT_PKf
		.amdhsa_group_segment_fixed_size 256
		.amdhsa_private_segment_fixed_size 0
		.amdhsa_kernarg_size 24
		.amdhsa_user_sgpr_count 6
		.amdhsa_user_sgpr_private_segment_buffer 1
		.amdhsa_user_sgpr_dispatch_ptr 0
		.amdhsa_user_sgpr_queue_ptr 0
		.amdhsa_user_sgpr_kernarg_segment_ptr 1
		.amdhsa_user_sgpr_dispatch_id 0
		.amdhsa_user_sgpr_flat_scratch_init 0
		.amdhsa_user_sgpr_kernarg_preload_length 0
		.amdhsa_user_sgpr_kernarg_preload_offset 0
		.amdhsa_user_sgpr_private_segment_size 0
		.amdhsa_uses_dynamic_stack 0
		.amdhsa_system_sgpr_private_segment_wavefront_offset 0
		.amdhsa_system_sgpr_workgroup_id_x 1
		.amdhsa_system_sgpr_workgroup_id_y 0
		.amdhsa_system_sgpr_workgroup_id_z 0
		.amdhsa_system_sgpr_workgroup_info 0
		.amdhsa_system_vgpr_workitem_id 0
		.amdhsa_next_free_vgpr 42
		.amdhsa_next_free_sgpr 24
		.amdhsa_accum_offset 44
		.amdhsa_reserve_vcc 1
		.amdhsa_reserve_flat_scratch 0
		.amdhsa_float_round_mode_32 0
		.amdhsa_float_round_mode_16_64 0
		.amdhsa_float_denorm_mode_32 3
		.amdhsa_float_denorm_mode_16_64 3
		.amdhsa_dx10_clamp 1
		.amdhsa_ieee_mode 1
		.amdhsa_fp16_overflow 0
		.amdhsa_tg_split 0
		.amdhsa_exception_fp_ieee_invalid_op 0
		.amdhsa_exception_fp_denorm_src 0
		.amdhsa_exception_fp_ieee_div_zero 0
		.amdhsa_exception_fp_ieee_overflow 0
		.amdhsa_exception_fp_ieee_underflow 0
		.amdhsa_exception_fp_ieee_inexact 0
		.amdhsa_exception_int_div_zero 0
	.end_amdhsa_kernel
	.section	.text._Z23fp32_router_gemm_kernelIfLi128ELi16ELi256ELi3072EEvPfPKT_PKf,"axG",@progbits,_Z23fp32_router_gemm_kernelIfLi128ELi16ELi256ELi3072EEvPfPKT_PKf,comdat
.Lfunc_end15:
	.size	_Z23fp32_router_gemm_kernelIfLi128ELi16ELi256ELi3072EEvPfPKT_PKf, .Lfunc_end15-_Z23fp32_router_gemm_kernelIfLi128ELi16ELi256ELi3072EEvPfPKT_PKf
                                        ; -- End function
	.section	.AMDGPU.csdata,"",@progbits
; Kernel info:
; codeLenInByte = 3316
; NumSgprs: 28
; NumVgprs: 42
; NumAgprs: 0
; TotalNumVgprs: 42
; ScratchSize: 0
; MemoryBound: 0
; FloatMode: 240
; IeeeMode: 1
; LDSByteSize: 256 bytes/workgroup (compile time only)
; SGPRBlocks: 3
; VGPRBlocks: 5
; NumSGPRsForWavesPerEU: 28
; NumVGPRsForWavesPerEU: 42
; AccumOffset: 44
; Occupancy: 8
; WaveLimiterHint : 1
; COMPUTE_PGM_RSRC2:SCRATCH_EN: 0
; COMPUTE_PGM_RSRC2:USER_SGPR: 6
; COMPUTE_PGM_RSRC2:TRAP_HANDLER: 0
; COMPUTE_PGM_RSRC2:TGID_X_EN: 1
; COMPUTE_PGM_RSRC2:TGID_Y_EN: 0
; COMPUTE_PGM_RSRC2:TGID_Z_EN: 0
; COMPUTE_PGM_RSRC2:TIDIG_COMP_CNT: 0
; COMPUTE_PGM_RSRC3_GFX90A:ACCUM_OFFSET: 10
; COMPUTE_PGM_RSRC3_GFX90A:TG_SPLIT: 0
	.section	.text._Z23fp32_router_gemm_kernelIfLi128ELi17ELi256ELi3072EEvPfPKT_PKf,"axG",@progbits,_Z23fp32_router_gemm_kernelIfLi128ELi17ELi256ELi3072EEvPfPKT_PKf,comdat
	.protected	_Z23fp32_router_gemm_kernelIfLi128ELi17ELi256ELi3072EEvPfPKT_PKf ; -- Begin function _Z23fp32_router_gemm_kernelIfLi128ELi17ELi256ELi3072EEvPfPKT_PKf
	.globl	_Z23fp32_router_gemm_kernelIfLi128ELi17ELi256ELi3072EEvPfPKT_PKf
	.p2align	8
	.type	_Z23fp32_router_gemm_kernelIfLi128ELi17ELi256ELi3072EEvPfPKT_PKf,@function
_Z23fp32_router_gemm_kernelIfLi128ELi17ELi256ELi3072EEvPfPKT_PKf: ; @_Z23fp32_router_gemm_kernelIfLi128ELi17ELi256ELi3072EEvPfPKT_PKf
; %bb.0:
	s_load_dwordx4 s[0:3], s[4:5], 0x0
	s_load_dwordx2 s[8:9], s[4:5], 0x10
	s_mul_i32 s4, s6, 0xc00
	s_ashr_i32 s5, s4, 31
	s_lshl_b64 s[4:5], s[4:5], 2
	v_lshlrev_b32_e32 v2, 2, v0
	s_waitcnt lgkmcnt(0)
	s_add_u32 s4, s8, s4
	v_or_b32_e32 v1, 0x200, v2
	v_or_b32_e32 v4, 0x400, v2
	;; [unrolled: 1-line block ×5, first 2 shown]
	s_addc_u32 s5, s9, s5
	s_mov_b64 s[8:9], 0
	v_mov_b32_e32 v31, 0
	v_mov_b32_e32 v32, s3
	s_movk_i32 s7, 0x3000
	s_movk_i32 s10, 0x6000
	s_mov_b32 s11, 0x9000
	s_mov_b32 s12, 0xc000
	;; [unrolled: 1-line block ×14, first 2 shown]
	v_mov_b32_e32 v30, 0
	v_mov_b32_e32 v29, 0
	;; [unrolled: 1-line block ×16, first 2 shown]
.LBB16_1:                               ; =>This Inner Loop Header: Depth=1
	s_cmp_eq_u32 s8, 1
	s_cselect_b64 vcc, -1, 0
	s_cmp_eq_u32 s8, 2
	v_cndmask_b32_e32 v8, v2, v1, vcc
	s_cselect_b64 vcc, -1, 0
	s_cmp_eq_u32 s8, 3
	v_cndmask_b32_e32 v8, v8, v4, vcc
	s_cselect_b64 vcc, -1, 0
	s_cmp_eq_u32 s8, 4
	v_cndmask_b32_e32 v8, v8, v3, vcc
	s_cselect_b64 vcc, -1, 0
	s_cmp_eq_u32 s8, 5
	v_cndmask_b32_e32 v8, v8, v6, vcc
	s_cselect_b64 vcc, -1, 0
	v_cndmask_b32_e32 v8, v8, v5, vcc
	v_lshlrev_b32_e32 v33, 2, v8
	v_add_co_u32_e32 v46, vcc, s2, v33
	v_addc_co_u32_e32 v47, vcc, 0, v32, vcc
	v_add_co_u32_e32 v42, vcc, s7, v46
	v_addc_co_u32_e32 v43, vcc, 0, v47, vcc
	;; [unrolled: 2-line block ×3, first 2 shown]
	global_load_dwordx4 v[34:37], v[42:43], off
	global_load_dwordx4 v[38:41], v[44:45], off
	global_load_dwordx4 v[8:11], v33, s[4:5]
	global_load_dwordx4 v[12:15], v33, s[2:3]
	v_add_co_u32_e32 v42, vcc, s11, v46
	v_addc_co_u32_e32 v43, vcc, 0, v47, vcc
	v_add_co_u32_e32 v44, vcc, s12, v46
	v_addc_co_u32_e32 v45, vcc, 0, v47, vcc
	s_add_u32 s8, s8, 1
	s_addc_u32 s9, s9, 0
	s_cmp_eq_u32 s8, 6
	s_waitcnt vmcnt(1)
	v_fmac_f32_e32 v30, v34, v8
	v_fmac_f32_e32 v29, v38, v8
	;; [unrolled: 1-line block ×8, first 2 shown]
	global_load_dwordx4 v[34:37], v[42:43], off
	global_load_dwordx4 v[38:41], v[44:45], off
	v_add_co_u32_e32 v42, vcc, s13, v46
	v_addc_co_u32_e32 v43, vcc, 0, v47, vcc
	v_add_co_u32_e32 v44, vcc, s14, v46
	v_addc_co_u32_e32 v45, vcc, 0, v47, vcc
	s_waitcnt vmcnt(1)
	v_fmac_f32_e32 v28, v34, v8
	s_waitcnt vmcnt(0)
	v_fmac_f32_e32 v27, v38, v8
	v_fmac_f32_e32 v28, v35, v9
	v_fmac_f32_e32 v27, v39, v9
	v_fmac_f32_e32 v28, v36, v10
	v_fmac_f32_e32 v27, v40, v10
	v_fmac_f32_e32 v28, v37, v11
	v_fmac_f32_e32 v27, v41, v11
	global_load_dwordx4 v[34:37], v[42:43], off
	global_load_dwordx4 v[38:41], v[44:45], off
	v_add_co_u32_e32 v42, vcc, s15, v46
	v_addc_co_u32_e32 v43, vcc, 0, v47, vcc
	v_add_co_u32_e32 v44, vcc, s16, v46
	v_addc_co_u32_e32 v45, vcc, 0, v47, vcc
	s_waitcnt vmcnt(1)
	v_fmac_f32_e32 v26, v34, v8
	s_waitcnt vmcnt(0)
	v_fmac_f32_e32 v25, v38, v8
	v_fmac_f32_e32 v26, v35, v9
	v_fmac_f32_e32 v25, v39, v9
	v_fmac_f32_e32 v26, v36, v10
	v_fmac_f32_e32 v25, v40, v10
	v_fmac_f32_e32 v26, v37, v11
	v_fmac_f32_e32 v25, v41, v11
	;; [unrolled: 16-line block ×6, first 2 shown]
	global_load_dwordx4 v[34:37], v[42:43], off
	global_load_dwordx4 v[38:41], v[44:45], off
	s_waitcnt vmcnt(1)
	v_fmac_f32_e32 v16, v34, v8
	s_waitcnt vmcnt(0)
	v_fmac_f32_e32 v7, v38, v8
	v_fmac_f32_e32 v16, v35, v9
	;; [unrolled: 1-line block ×3, first 2 shown]
	v_pk_mul_f32 v[8:9], v[12:13], v[8:9]
	v_fmac_f32_e32 v16, v36, v10
	v_fmac_f32_e32 v7, v40, v10
	v_add_f32_e32 v8, v8, v31
	v_fmac_f32_e32 v16, v37, v11
	v_fmac_f32_e32 v7, v41, v11
	v_pk_mul_f32 v[10:11], v[14:15], v[10:11]
	v_add_f32_e32 v8, v9, v8
	v_add_f32_e32 v8, v10, v8
	;; [unrolled: 1-line block ×3, first 2 shown]
	s_cbranch_scc0 .LBB16_1
; %bb.2:
	v_mbcnt_lo_u32_b32 v1, -1, 0
	v_mbcnt_hi_u32_b32 v5, -1, v1
	v_and_b32_e32 v2, 64, v5
	v_xor_b32_e32 v1, 16, v5
	v_add_u32_e32 v6, 64, v2
	v_cmp_lt_i32_e32 vcc, v1, v6
	v_cndmask_b32_e32 v1, v5, v1, vcc
	v_lshlrev_b32_e32 v1, 2, v1
	ds_bpermute_b32 v3, v1, v31
	v_xor_b32_e32 v2, 8, v5
	v_cmp_lt_i32_e32 vcc, v2, v6
	v_cndmask_b32_e32 v2, v5, v2, vcc
	v_lshlrev_b32_e32 v2, 2, v2
	s_waitcnt lgkmcnt(0)
	v_add_f32_e32 v4, v31, v3
	ds_bpermute_b32 v8, v2, v4
	v_xor_b32_e32 v3, 4, v5
	v_cmp_lt_i32_e32 vcc, v3, v6
	v_cndmask_b32_e32 v3, v5, v3, vcc
	v_lshlrev_b32_e32 v3, 2, v3
	s_waitcnt lgkmcnt(0)
	v_add_f32_e32 v8, v4, v8
	;; [unrolled: 7-line block ×4, first 2 shown]
	ds_bpermute_b32 v9, v6, v8
	v_lshrrev_b32_e32 v5, 5, v0
	v_and_b32_e32 v10, 31, v0
	v_cmp_eq_u32_e32 vcc, 0, v10
	v_lshlrev_b32_e32 v5, 2, v5
	s_and_saveexec_b64 s[2:3], vcc
	s_cbranch_execz .LBB16_4
; %bb.3:
	s_waitcnt lgkmcnt(0)
	v_add_f32_e32 v8, v8, v9
	ds_write_b32 v5, v8
.LBB16_4:
	s_or_b64 exec, exec, s[2:3]
	ds_bpermute_b32 v8, v1, v30
	s_waitcnt lgkmcnt(0)
	v_add_f32_e32 v8, v30, v8
	ds_bpermute_b32 v9, v2, v8
	s_waitcnt lgkmcnt(0)
	v_add_f32_e32 v8, v8, v9
	ds_bpermute_b32 v9, v3, v8
	s_waitcnt lgkmcnt(0)
	v_add_f32_e32 v8, v8, v9
	ds_bpermute_b32 v9, v4, v8
	s_waitcnt lgkmcnt(0)
	v_add_f32_e32 v8, v8, v9
	ds_bpermute_b32 v9, v6, v8
	s_and_saveexec_b64 s[2:3], vcc
	s_cbranch_execz .LBB16_6
; %bb.5:
	s_waitcnt lgkmcnt(0)
	v_add_f32_e32 v8, v8, v9
	ds_write_b32 v5, v8 offset:16
.LBB16_6:
	s_or_b64 exec, exec, s[2:3]
	ds_bpermute_b32 v8, v1, v29
	s_waitcnt lgkmcnt(0)
	v_add_f32_e32 v8, v29, v8
	ds_bpermute_b32 v9, v2, v8
	s_waitcnt lgkmcnt(0)
	v_add_f32_e32 v8, v8, v9
	ds_bpermute_b32 v9, v3, v8
	s_waitcnt lgkmcnt(0)
	v_add_f32_e32 v8, v8, v9
	ds_bpermute_b32 v9, v4, v8
	s_waitcnt lgkmcnt(0)
	v_add_f32_e32 v8, v8, v9
	ds_bpermute_b32 v9, v6, v8
	s_and_saveexec_b64 s[2:3], vcc
	s_cbranch_execz .LBB16_8
; %bb.7:
	s_waitcnt lgkmcnt(0)
	v_add_f32_e32 v8, v8, v9
	ds_write_b32 v5, v8 offset:32
.LBB16_8:
	;; [unrolled: 21-line block ×16, first 2 shown]
	s_or_b64 exec, exec, s[2:3]
	v_cmp_eq_u32_e32 vcc, 0, v0
	s_waitcnt lgkmcnt(0)
	s_barrier
	s_and_saveexec_b64 s[2:3], vcc
	s_cbranch_execz .LBB16_38
; %bb.37:
	v_mov_b32_e32 v16, 0
	ds_read_b128 v[0:3], v16
	s_ashr_i32 s7, s6, 31
	ds_read_b128 v[4:7], v16 offset:16
	ds_read_b128 v[8:11], v16 offset:32
	;; [unrolled: 1-line block ×3, first 2 shown]
	s_lshl_b64 s[2:3], s[6:7], 2
	s_add_u32 s0, s0, s2
	s_waitcnt lgkmcnt(3)
	v_add_f32_e32 v0, 0, v0
	v_add_f32_e32 v0, v0, v1
	;; [unrolled: 1-line block ×4, first 2 shown]
	s_addc_u32 s1, s1, s3
	global_store_dword v16, v0, s[0:1]
	s_waitcnt lgkmcnt(2)
	v_add_f32_e32 v0, 0, v4
	v_add_f32_e32 v0, v0, v5
	;; [unrolled: 1-line block ×4, first 2 shown]
	global_store_dword v16, v0, s[0:1] offset:1024
	s_waitcnt lgkmcnt(1)
	v_add_f32_e32 v0, 0, v8
	v_add_f32_e32 v0, v0, v9
	;; [unrolled: 1-line block ×4, first 2 shown]
	global_store_dword v16, v0, s[0:1] offset:2048
	s_waitcnt lgkmcnt(0)
	v_add_f32_e32 v0, 0, v12
	v_add_f32_e32 v4, v0, v13
	ds_read_b128 v[0:3], v16 offset:64
	v_add_f32_e32 v4, v4, v14
	v_add_f32_e32 v4, v4, v15
	global_store_dword v16, v4, s[0:1] offset:3072
	ds_read_b128 v[4:7], v16 offset:80
	s_waitcnt lgkmcnt(1)
	v_add_f32_e32 v0, 0, v0
	v_add_f32_e32 v0, v0, v1
	;; [unrolled: 1-line block ×4, first 2 shown]
	v_mov_b32_e32 v8, 0x1000
	global_store_dword v8, v0, s[0:1]
	s_waitcnt lgkmcnt(0)
	v_add_f32_e32 v0, 0, v4
	v_add_f32_e32 v4, v0, v5
	ds_read_b128 v[0:3], v16 offset:96
	v_add_f32_e32 v4, v4, v6
	v_add_f32_e32 v4, v4, v7
	global_store_dword v8, v4, s[0:1] offset:1024
	ds_read_b128 v[4:7], v16 offset:112
	s_waitcnt lgkmcnt(1)
	v_add_f32_e32 v0, 0, v0
	v_add_f32_e32 v0, v0, v1
	;; [unrolled: 1-line block ×4, first 2 shown]
	global_store_dword v8, v0, s[0:1] offset:2048
	s_waitcnt lgkmcnt(0)
	v_add_f32_e32 v0, 0, v4
	v_add_f32_e32 v4, v0, v5
	ds_read_b128 v[0:3], v16 offset:128
	v_add_f32_e32 v4, v4, v6
	v_add_f32_e32 v4, v4, v7
	global_store_dword v8, v4, s[0:1] offset:3072
	ds_read_b128 v[4:7], v16 offset:144
	s_waitcnt lgkmcnt(1)
	v_add_f32_e32 v0, 0, v0
	v_add_f32_e32 v0, v0, v1
	;; [unrolled: 1-line block ×4, first 2 shown]
	v_mov_b32_e32 v12, 0x2000
	global_store_dword v12, v0, s[0:1]
	ds_read_b128 v[0:3], v16 offset:160
	ds_read_b128 v[8:11], v16 offset:176
	s_waitcnt lgkmcnt(2)
	v_add_f32_e32 v4, 0, v4
	v_add_f32_e32 v4, v4, v5
	;; [unrolled: 1-line block ×3, first 2 shown]
	s_waitcnt lgkmcnt(1)
	v_add_f32_e32 v0, 0, v0
	v_add_f32_e32 v0, v0, v1
	;; [unrolled: 1-line block ×5, first 2 shown]
	global_store_dword v12, v0, s[0:1] offset:2048
	s_waitcnt lgkmcnt(0)
	v_add_f32_e32 v0, 0, v8
	global_store_dword v12, v4, s[0:1] offset:1024
	v_add_f32_e32 v4, v0, v9
	ds_read_b128 v[0:3], v16 offset:192
	v_add_f32_e32 v4, v4, v10
	v_add_f32_e32 v4, v4, v11
	global_store_dword v12, v4, s[0:1] offset:3072
	ds_read_b128 v[4:7], v16 offset:208
	s_waitcnt lgkmcnt(1)
	v_add_f32_e32 v0, 0, v0
	v_add_f32_e32 v0, v0, v1
	;; [unrolled: 1-line block ×4, first 2 shown]
	v_mov_b32_e32 v8, 0x3000
	global_store_dword v8, v0, s[0:1]
	s_waitcnt lgkmcnt(0)
	v_add_f32_e32 v0, 0, v4
	v_add_f32_e32 v4, v0, v5
	ds_read_b128 v[0:3], v16 offset:224
	v_add_f32_e32 v4, v4, v6
	v_add_f32_e32 v4, v4, v7
	global_store_dword v8, v4, s[0:1] offset:1024
	ds_read_b128 v[4:7], v16 offset:240
	s_waitcnt lgkmcnt(1)
	v_add_f32_e32 v0, 0, v0
	v_add_f32_e32 v0, v0, v1
	;; [unrolled: 1-line block ×4, first 2 shown]
	global_store_dword v8, v0, s[0:1] offset:2048
	ds_read_b128 v[0:3], v16 offset:256
	s_waitcnt lgkmcnt(1)
	v_add_f32_e32 v4, 0, v4
	v_add_f32_e32 v4, v4, v5
	;; [unrolled: 1-line block ×4, first 2 shown]
	s_waitcnt lgkmcnt(0)
	v_add_f32_e32 v0, 0, v0
	v_add_f32_e32 v0, v0, v1
	;; [unrolled: 1-line block ×4, first 2 shown]
	v_mov_b32_e32 v1, 0x4000
	global_store_dword v8, v4, s[0:1] offset:3072
	global_store_dword v1, v0, s[0:1]
.LBB16_38:
	s_endpgm
	.section	.rodata,"a",@progbits
	.p2align	6, 0x0
	.amdhsa_kernel _Z23fp32_router_gemm_kernelIfLi128ELi17ELi256ELi3072EEvPfPKT_PKf
		.amdhsa_group_segment_fixed_size 272
		.amdhsa_private_segment_fixed_size 0
		.amdhsa_kernarg_size 24
		.amdhsa_user_sgpr_count 6
		.amdhsa_user_sgpr_private_segment_buffer 1
		.amdhsa_user_sgpr_dispatch_ptr 0
		.amdhsa_user_sgpr_queue_ptr 0
		.amdhsa_user_sgpr_kernarg_segment_ptr 1
		.amdhsa_user_sgpr_dispatch_id 0
		.amdhsa_user_sgpr_flat_scratch_init 0
		.amdhsa_user_sgpr_kernarg_preload_length 0
		.amdhsa_user_sgpr_kernarg_preload_offset 0
		.amdhsa_user_sgpr_private_segment_size 0
		.amdhsa_uses_dynamic_stack 0
		.amdhsa_system_sgpr_private_segment_wavefront_offset 0
		.amdhsa_system_sgpr_workgroup_id_x 1
		.amdhsa_system_sgpr_workgroup_id_y 0
		.amdhsa_system_sgpr_workgroup_id_z 0
		.amdhsa_system_sgpr_workgroup_info 0
		.amdhsa_system_vgpr_workitem_id 0
		.amdhsa_next_free_vgpr 48
		.amdhsa_next_free_sgpr 25
		.amdhsa_accum_offset 48
		.amdhsa_reserve_vcc 1
		.amdhsa_reserve_flat_scratch 0
		.amdhsa_float_round_mode_32 0
		.amdhsa_float_round_mode_16_64 0
		.amdhsa_float_denorm_mode_32 3
		.amdhsa_float_denorm_mode_16_64 3
		.amdhsa_dx10_clamp 1
		.amdhsa_ieee_mode 1
		.amdhsa_fp16_overflow 0
		.amdhsa_tg_split 0
		.amdhsa_exception_fp_ieee_invalid_op 0
		.amdhsa_exception_fp_denorm_src 0
		.amdhsa_exception_fp_ieee_div_zero 0
		.amdhsa_exception_fp_ieee_overflow 0
		.amdhsa_exception_fp_ieee_underflow 0
		.amdhsa_exception_fp_ieee_inexact 0
		.amdhsa_exception_int_div_zero 0
	.end_amdhsa_kernel
	.section	.text._Z23fp32_router_gemm_kernelIfLi128ELi17ELi256ELi3072EEvPfPKT_PKf,"axG",@progbits,_Z23fp32_router_gemm_kernelIfLi128ELi17ELi256ELi3072EEvPfPKT_PKf,comdat
.Lfunc_end16:
	.size	_Z23fp32_router_gemm_kernelIfLi128ELi17ELi256ELi3072EEvPfPKT_PKf, .Lfunc_end16-_Z23fp32_router_gemm_kernelIfLi128ELi17ELi256ELi3072EEvPfPKT_PKf
                                        ; -- End function
	.section	.AMDGPU.csdata,"",@progbits
; Kernel info:
; codeLenInByte = 3500
; NumSgprs: 29
; NumVgprs: 48
; NumAgprs: 0
; TotalNumVgprs: 48
; ScratchSize: 0
; MemoryBound: 0
; FloatMode: 240
; IeeeMode: 1
; LDSByteSize: 272 bytes/workgroup (compile time only)
; SGPRBlocks: 3
; VGPRBlocks: 5
; NumSGPRsForWavesPerEU: 29
; NumVGPRsForWavesPerEU: 48
; AccumOffset: 48
; Occupancy: 8
; WaveLimiterHint : 1
; COMPUTE_PGM_RSRC2:SCRATCH_EN: 0
; COMPUTE_PGM_RSRC2:USER_SGPR: 6
; COMPUTE_PGM_RSRC2:TRAP_HANDLER: 0
; COMPUTE_PGM_RSRC2:TGID_X_EN: 1
; COMPUTE_PGM_RSRC2:TGID_Y_EN: 0
; COMPUTE_PGM_RSRC2:TGID_Z_EN: 0
; COMPUTE_PGM_RSRC2:TIDIG_COMP_CNT: 0
; COMPUTE_PGM_RSRC3_GFX90A:ACCUM_OFFSET: 11
; COMPUTE_PGM_RSRC3_GFX90A:TG_SPLIT: 0
	.section	.text._Z23fp32_router_gemm_kernelIfLi128ELi18ELi256ELi3072EEvPfPKT_PKf,"axG",@progbits,_Z23fp32_router_gemm_kernelIfLi128ELi18ELi256ELi3072EEvPfPKT_PKf,comdat
	.protected	_Z23fp32_router_gemm_kernelIfLi128ELi18ELi256ELi3072EEvPfPKT_PKf ; -- Begin function _Z23fp32_router_gemm_kernelIfLi128ELi18ELi256ELi3072EEvPfPKT_PKf
	.globl	_Z23fp32_router_gemm_kernelIfLi128ELi18ELi256ELi3072EEvPfPKT_PKf
	.p2align	8
	.type	_Z23fp32_router_gemm_kernelIfLi128ELi18ELi256ELi3072EEvPfPKT_PKf,@function
_Z23fp32_router_gemm_kernelIfLi128ELi18ELi256ELi3072EEvPfPKT_PKf: ; @_Z23fp32_router_gemm_kernelIfLi128ELi18ELi256ELi3072EEvPfPKT_PKf
; %bb.0:
	s_load_dwordx4 s[0:3], s[4:5], 0x0
	s_load_dwordx2 s[8:9], s[4:5], 0x10
	s_mul_i32 s4, s6, 0xc00
	s_ashr_i32 s5, s4, 31
	s_lshl_b64 s[4:5], s[4:5], 2
	v_lshlrev_b32_e32 v2, 2, v0
	s_waitcnt lgkmcnt(0)
	s_add_u32 s4, s8, s4
	v_or_b32_e32 v1, 0x200, v2
	v_or_b32_e32 v4, 0x400, v2
	;; [unrolled: 1-line block ×5, first 2 shown]
	s_addc_u32 s5, s9, s5
	s_mov_b64 s[8:9], 0
	v_mov_b32_e32 v32, 0
	v_mov_b32_e32 v33, s3
	s_movk_i32 s7, 0x3000
	s_movk_i32 s10, 0x6000
	s_mov_b32 s11, 0x9000
	s_mov_b32 s12, 0xc000
	;; [unrolled: 1-line block ×15, first 2 shown]
	v_mov_b32_e32 v31, 0
	v_mov_b32_e32 v30, 0
	;; [unrolled: 1-line block ×17, first 2 shown]
.LBB17_1:                               ; =>This Inner Loop Header: Depth=1
	s_cmp_eq_u32 s8, 1
	s_cselect_b64 vcc, -1, 0
	s_cmp_eq_u32 s8, 2
	v_cndmask_b32_e32 v8, v2, v1, vcc
	s_cselect_b64 vcc, -1, 0
	s_cmp_eq_u32 s8, 3
	v_cndmask_b32_e32 v8, v8, v4, vcc
	;; [unrolled: 3-line block ×4, first 2 shown]
	s_cselect_b64 vcc, -1, 0
	v_cndmask_b32_e32 v8, v8, v5, vcc
	v_lshlrev_b32_e32 v46, 2, v8
	v_add_co_u32_e32 v47, vcc, s2, v46
	v_addc_co_u32_e32 v48, vcc, 0, v33, vcc
	v_add_co_u32_e32 v42, vcc, s7, v47
	v_addc_co_u32_e32 v43, vcc, 0, v48, vcc
	;; [unrolled: 2-line block ×3, first 2 shown]
	global_load_dwordx4 v[34:37], v[42:43], off
	global_load_dwordx4 v[38:41], v[44:45], off
	global_load_dwordx4 v[8:11], v46, s[4:5]
	global_load_dwordx4 v[12:15], v46, s[2:3]
	v_add_co_u32_e32 v42, vcc, s11, v47
	v_addc_co_u32_e32 v43, vcc, 0, v48, vcc
	v_add_co_u32_e32 v44, vcc, s12, v47
	v_addc_co_u32_e32 v45, vcc, 0, v48, vcc
	s_add_u32 s8, s8, 1
	s_addc_u32 s9, s9, 0
	s_cmp_eq_u32 s8, 6
	s_waitcnt vmcnt(1)
	v_fmac_f32_e32 v31, v34, v8
	v_fmac_f32_e32 v30, v38, v8
	;; [unrolled: 1-line block ×8, first 2 shown]
	global_load_dwordx4 v[34:37], v[42:43], off
	global_load_dwordx4 v[38:41], v[44:45], off
	v_add_co_u32_e32 v42, vcc, s13, v47
	v_addc_co_u32_e32 v43, vcc, 0, v48, vcc
	v_add_co_u32_e32 v44, vcc, s14, v47
	v_addc_co_u32_e32 v45, vcc, 0, v48, vcc
	s_waitcnt vmcnt(1)
	v_fmac_f32_e32 v29, v34, v8
	s_waitcnt vmcnt(0)
	v_fmac_f32_e32 v28, v38, v8
	v_fmac_f32_e32 v29, v35, v9
	v_fmac_f32_e32 v28, v39, v9
	v_fmac_f32_e32 v29, v36, v10
	v_fmac_f32_e32 v28, v40, v10
	v_fmac_f32_e32 v29, v37, v11
	v_fmac_f32_e32 v28, v41, v11
	global_load_dwordx4 v[34:37], v[42:43], off
	global_load_dwordx4 v[38:41], v[44:45], off
	v_add_co_u32_e32 v42, vcc, s15, v47
	v_addc_co_u32_e32 v43, vcc, 0, v48, vcc
	v_add_co_u32_e32 v44, vcc, s16, v47
	v_addc_co_u32_e32 v45, vcc, 0, v48, vcc
	s_waitcnt vmcnt(1)
	v_fmac_f32_e32 v27, v34, v8
	s_waitcnt vmcnt(0)
	v_fmac_f32_e32 v26, v38, v8
	v_fmac_f32_e32 v27, v35, v9
	v_fmac_f32_e32 v26, v39, v9
	v_fmac_f32_e32 v27, v36, v10
	v_fmac_f32_e32 v26, v40, v10
	v_fmac_f32_e32 v27, v37, v11
	v_fmac_f32_e32 v26, v41, v11
	;; [unrolled: 16-line block ×6, first 2 shown]
	global_load_dwordx4 v[34:37], v[42:43], off
	global_load_dwordx4 v[38:41], v[44:45], off
	s_waitcnt vmcnt(1)
	v_fmac_f32_e32 v17, v34, v8
	v_fmac_f32_e32 v17, v35, v9
	v_add_co_u32_e32 v34, vcc, s25, v47
	v_fmac_f32_e32 v17, v36, v10
	v_addc_co_u32_e32 v35, vcc, 0, v48, vcc
	v_fmac_f32_e32 v17, v37, v11
	global_load_dwordx4 v[34:37], v[34:35], off
	s_waitcnt vmcnt(1)
	v_fmac_f32_e32 v16, v38, v8
	v_fmac_f32_e32 v16, v39, v9
	;; [unrolled: 1-line block ×4, first 2 shown]
	s_waitcnt vmcnt(0)
	v_fmac_f32_e32 v7, v34, v8
	v_fmac_f32_e32 v7, v35, v9
	v_pk_mul_f32 v[8:9], v[12:13], v[8:9]
	v_fmac_f32_e32 v7, v36, v10
	v_add_f32_e32 v8, v8, v32
	v_fmac_f32_e32 v7, v37, v11
	v_pk_mul_f32 v[10:11], v[14:15], v[10:11]
	v_add_f32_e32 v8, v9, v8
	v_add_f32_e32 v8, v10, v8
	;; [unrolled: 1-line block ×3, first 2 shown]
	s_cbranch_scc0 .LBB17_1
; %bb.2:
	v_mbcnt_lo_u32_b32 v1, -1, 0
	v_mbcnt_hi_u32_b32 v5, -1, v1
	v_and_b32_e32 v2, 64, v5
	v_xor_b32_e32 v1, 16, v5
	v_add_u32_e32 v6, 64, v2
	v_cmp_lt_i32_e32 vcc, v1, v6
	v_cndmask_b32_e32 v1, v5, v1, vcc
	v_lshlrev_b32_e32 v1, 2, v1
	ds_bpermute_b32 v3, v1, v32
	v_xor_b32_e32 v2, 8, v5
	v_cmp_lt_i32_e32 vcc, v2, v6
	v_cndmask_b32_e32 v2, v5, v2, vcc
	v_lshlrev_b32_e32 v2, 2, v2
	s_waitcnt lgkmcnt(0)
	v_add_f32_e32 v4, v32, v3
	ds_bpermute_b32 v8, v2, v4
	v_xor_b32_e32 v3, 4, v5
	v_cmp_lt_i32_e32 vcc, v3, v6
	v_cndmask_b32_e32 v3, v5, v3, vcc
	v_lshlrev_b32_e32 v3, 2, v3
	s_waitcnt lgkmcnt(0)
	v_add_f32_e32 v8, v4, v8
	;; [unrolled: 7-line block ×4, first 2 shown]
	ds_bpermute_b32 v9, v6, v8
	v_lshrrev_b32_e32 v5, 5, v0
	v_and_b32_e32 v10, 31, v0
	v_cmp_eq_u32_e32 vcc, 0, v10
	v_lshlrev_b32_e32 v5, 2, v5
	s_and_saveexec_b64 s[2:3], vcc
	s_cbranch_execz .LBB17_4
; %bb.3:
	s_waitcnt lgkmcnt(0)
	v_add_f32_e32 v8, v8, v9
	ds_write_b32 v5, v8
.LBB17_4:
	s_or_b64 exec, exec, s[2:3]
	ds_bpermute_b32 v8, v1, v31
	s_waitcnt lgkmcnt(0)
	v_add_f32_e32 v8, v31, v8
	ds_bpermute_b32 v9, v2, v8
	s_waitcnt lgkmcnt(0)
	v_add_f32_e32 v8, v8, v9
	ds_bpermute_b32 v9, v3, v8
	s_waitcnt lgkmcnt(0)
	v_add_f32_e32 v8, v8, v9
	ds_bpermute_b32 v9, v4, v8
	s_waitcnt lgkmcnt(0)
	v_add_f32_e32 v8, v8, v9
	ds_bpermute_b32 v9, v6, v8
	s_and_saveexec_b64 s[2:3], vcc
	s_cbranch_execz .LBB17_6
; %bb.5:
	s_waitcnt lgkmcnt(0)
	v_add_f32_e32 v8, v8, v9
	ds_write_b32 v5, v8 offset:16
.LBB17_6:
	s_or_b64 exec, exec, s[2:3]
	ds_bpermute_b32 v8, v1, v30
	s_waitcnt lgkmcnt(0)
	v_add_f32_e32 v8, v30, v8
	ds_bpermute_b32 v9, v2, v8
	s_waitcnt lgkmcnt(0)
	v_add_f32_e32 v8, v8, v9
	ds_bpermute_b32 v9, v3, v8
	s_waitcnt lgkmcnt(0)
	v_add_f32_e32 v8, v8, v9
	ds_bpermute_b32 v9, v4, v8
	s_waitcnt lgkmcnt(0)
	v_add_f32_e32 v8, v8, v9
	ds_bpermute_b32 v9, v6, v8
	s_and_saveexec_b64 s[2:3], vcc
	s_cbranch_execz .LBB17_8
; %bb.7:
	s_waitcnt lgkmcnt(0)
	v_add_f32_e32 v8, v8, v9
	ds_write_b32 v5, v8 offset:32
.LBB17_8:
	;; [unrolled: 21-line block ×17, first 2 shown]
	s_or_b64 exec, exec, s[2:3]
	v_cmp_eq_u32_e32 vcc, 0, v0
	s_waitcnt lgkmcnt(0)
	s_barrier
	s_and_saveexec_b64 s[2:3], vcc
	s_cbranch_execz .LBB17_40
; %bb.39:
	v_mov_b32_e32 v16, 0
	ds_read_b128 v[0:3], v16
	s_ashr_i32 s7, s6, 31
	ds_read_b128 v[4:7], v16 offset:16
	ds_read_b128 v[8:11], v16 offset:32
	;; [unrolled: 1-line block ×3, first 2 shown]
	s_lshl_b64 s[2:3], s[6:7], 2
	s_add_u32 s0, s0, s2
	s_waitcnt lgkmcnt(3)
	v_add_f32_e32 v0, 0, v0
	v_add_f32_e32 v0, v0, v1
	;; [unrolled: 1-line block ×4, first 2 shown]
	s_addc_u32 s1, s1, s3
	global_store_dword v16, v0, s[0:1]
	s_waitcnt lgkmcnt(2)
	v_add_f32_e32 v0, 0, v4
	v_add_f32_e32 v0, v0, v5
	;; [unrolled: 1-line block ×4, first 2 shown]
	global_store_dword v16, v0, s[0:1] offset:1024
	s_waitcnt lgkmcnt(1)
	v_add_f32_e32 v0, 0, v8
	v_add_f32_e32 v0, v0, v9
	;; [unrolled: 1-line block ×4, first 2 shown]
	global_store_dword v16, v0, s[0:1] offset:2048
	s_waitcnt lgkmcnt(0)
	v_add_f32_e32 v0, 0, v12
	v_add_f32_e32 v4, v0, v13
	ds_read_b128 v[0:3], v16 offset:64
	v_add_f32_e32 v4, v4, v14
	v_add_f32_e32 v4, v4, v15
	global_store_dword v16, v4, s[0:1] offset:3072
	ds_read_b128 v[4:7], v16 offset:80
	s_waitcnt lgkmcnt(1)
	v_add_f32_e32 v0, 0, v0
	v_add_f32_e32 v0, v0, v1
	;; [unrolled: 1-line block ×4, first 2 shown]
	v_mov_b32_e32 v8, 0x1000
	global_store_dword v8, v0, s[0:1]
	s_waitcnt lgkmcnt(0)
	v_add_f32_e32 v0, 0, v4
	v_add_f32_e32 v4, v0, v5
	ds_read_b128 v[0:3], v16 offset:96
	v_add_f32_e32 v4, v4, v6
	v_add_f32_e32 v4, v4, v7
	global_store_dword v8, v4, s[0:1] offset:1024
	ds_read_b128 v[4:7], v16 offset:112
	s_waitcnt lgkmcnt(1)
	v_add_f32_e32 v0, 0, v0
	v_add_f32_e32 v0, v0, v1
	;; [unrolled: 1-line block ×4, first 2 shown]
	global_store_dword v8, v0, s[0:1] offset:2048
	s_waitcnt lgkmcnt(0)
	v_add_f32_e32 v0, 0, v4
	v_add_f32_e32 v4, v0, v5
	ds_read_b128 v[0:3], v16 offset:128
	v_add_f32_e32 v4, v4, v6
	v_add_f32_e32 v4, v4, v7
	global_store_dword v8, v4, s[0:1] offset:3072
	ds_read_b128 v[4:7], v16 offset:144
	s_waitcnt lgkmcnt(1)
	v_add_f32_e32 v0, 0, v0
	v_add_f32_e32 v0, v0, v1
	;; [unrolled: 1-line block ×4, first 2 shown]
	v_mov_b32_e32 v12, 0x2000
	global_store_dword v12, v0, s[0:1]
	ds_read_b128 v[0:3], v16 offset:160
	ds_read_b128 v[8:11], v16 offset:176
	s_waitcnt lgkmcnt(2)
	v_add_f32_e32 v4, 0, v4
	v_add_f32_e32 v4, v4, v5
	;; [unrolled: 1-line block ×3, first 2 shown]
	s_waitcnt lgkmcnt(1)
	v_add_f32_e32 v0, 0, v0
	v_add_f32_e32 v0, v0, v1
	;; [unrolled: 1-line block ×5, first 2 shown]
	global_store_dword v12, v0, s[0:1] offset:2048
	s_waitcnt lgkmcnt(0)
	v_add_f32_e32 v0, 0, v8
	global_store_dword v12, v4, s[0:1] offset:1024
	v_add_f32_e32 v4, v0, v9
	ds_read_b128 v[0:3], v16 offset:192
	v_add_f32_e32 v4, v4, v10
	v_add_f32_e32 v4, v4, v11
	global_store_dword v12, v4, s[0:1] offset:3072
	ds_read_b128 v[4:7], v16 offset:208
	s_waitcnt lgkmcnt(1)
	v_add_f32_e32 v0, 0, v0
	v_add_f32_e32 v0, v0, v1
	;; [unrolled: 1-line block ×4, first 2 shown]
	v_mov_b32_e32 v8, 0x3000
	global_store_dword v8, v0, s[0:1]
	s_waitcnt lgkmcnt(0)
	v_add_f32_e32 v0, 0, v4
	v_add_f32_e32 v4, v0, v5
	ds_read_b128 v[0:3], v16 offset:224
	v_add_f32_e32 v4, v4, v6
	v_add_f32_e32 v4, v4, v7
	global_store_dword v8, v4, s[0:1] offset:1024
	ds_read_b128 v[4:7], v16 offset:240
	s_waitcnt lgkmcnt(1)
	v_add_f32_e32 v0, 0, v0
	v_add_f32_e32 v0, v0, v1
	;; [unrolled: 1-line block ×4, first 2 shown]
	global_store_dword v8, v0, s[0:1] offset:2048
	s_waitcnt lgkmcnt(0)
	v_add_f32_e32 v0, 0, v4
	v_add_f32_e32 v4, v0, v5
	ds_read_b128 v[0:3], v16 offset:256
	v_add_f32_e32 v4, v4, v6
	v_add_f32_e32 v4, v4, v7
	global_store_dword v8, v4, s[0:1] offset:3072
	ds_read_b128 v[4:7], v16 offset:272
	s_waitcnt lgkmcnt(1)
	v_add_f32_e32 v0, 0, v0
	v_add_f32_e32 v0, v0, v1
	;; [unrolled: 1-line block ×4, first 2 shown]
	v_mov_b32_e32 v1, 0x4000
	global_store_dword v1, v0, s[0:1]
	s_waitcnt lgkmcnt(0)
	v_add_f32_e32 v0, 0, v4
	v_add_f32_e32 v0, v0, v5
	v_add_f32_e32 v0, v0, v6
	v_add_f32_e32 v0, v0, v7
	global_store_dword v1, v0, s[0:1] offset:1024
.LBB17_40:
	s_endpgm
	.section	.rodata,"a",@progbits
	.p2align	6, 0x0
	.amdhsa_kernel _Z23fp32_router_gemm_kernelIfLi128ELi18ELi256ELi3072EEvPfPKT_PKf
		.amdhsa_group_segment_fixed_size 288
		.amdhsa_private_segment_fixed_size 0
		.amdhsa_kernarg_size 24
		.amdhsa_user_sgpr_count 6
		.amdhsa_user_sgpr_private_segment_buffer 1
		.amdhsa_user_sgpr_dispatch_ptr 0
		.amdhsa_user_sgpr_queue_ptr 0
		.amdhsa_user_sgpr_kernarg_segment_ptr 1
		.amdhsa_user_sgpr_dispatch_id 0
		.amdhsa_user_sgpr_flat_scratch_init 0
		.amdhsa_user_sgpr_kernarg_preload_length 0
		.amdhsa_user_sgpr_kernarg_preload_offset 0
		.amdhsa_user_sgpr_private_segment_size 0
		.amdhsa_uses_dynamic_stack 0
		.amdhsa_system_sgpr_private_segment_wavefront_offset 0
		.amdhsa_system_sgpr_workgroup_id_x 1
		.amdhsa_system_sgpr_workgroup_id_y 0
		.amdhsa_system_sgpr_workgroup_id_z 0
		.amdhsa_system_sgpr_workgroup_info 0
		.amdhsa_system_vgpr_workitem_id 0
		.amdhsa_next_free_vgpr 49
		.amdhsa_next_free_sgpr 26
		.amdhsa_accum_offset 52
		.amdhsa_reserve_vcc 1
		.amdhsa_reserve_flat_scratch 0
		.amdhsa_float_round_mode_32 0
		.amdhsa_float_round_mode_16_64 0
		.amdhsa_float_denorm_mode_32 3
		.amdhsa_float_denorm_mode_16_64 3
		.amdhsa_dx10_clamp 1
		.amdhsa_ieee_mode 1
		.amdhsa_fp16_overflow 0
		.amdhsa_tg_split 0
		.amdhsa_exception_fp_ieee_invalid_op 0
		.amdhsa_exception_fp_denorm_src 0
		.amdhsa_exception_fp_ieee_div_zero 0
		.amdhsa_exception_fp_ieee_overflow 0
		.amdhsa_exception_fp_ieee_underflow 0
		.amdhsa_exception_fp_ieee_inexact 0
		.amdhsa_exception_int_div_zero 0
	.end_amdhsa_kernel
	.section	.text._Z23fp32_router_gemm_kernelIfLi128ELi18ELi256ELi3072EEvPfPKT_PKf,"axG",@progbits,_Z23fp32_router_gemm_kernelIfLi128ELi18ELi256ELi3072EEvPfPKT_PKf,comdat
.Lfunc_end17:
	.size	_Z23fp32_router_gemm_kernelIfLi128ELi18ELi256ELi3072EEvPfPKT_PKf, .Lfunc_end17-_Z23fp32_router_gemm_kernelIfLi128ELi18ELi256ELi3072EEvPfPKT_PKf
                                        ; -- End function
	.section	.AMDGPU.csdata,"",@progbits
; Kernel info:
; codeLenInByte = 3684
; NumSgprs: 30
; NumVgprs: 49
; NumAgprs: 0
; TotalNumVgprs: 49
; ScratchSize: 0
; MemoryBound: 0
; FloatMode: 240
; IeeeMode: 1
; LDSByteSize: 288 bytes/workgroup (compile time only)
; SGPRBlocks: 3
; VGPRBlocks: 6
; NumSGPRsForWavesPerEU: 30
; NumVGPRsForWavesPerEU: 49
; AccumOffset: 52
; Occupancy: 8
; WaveLimiterHint : 1
; COMPUTE_PGM_RSRC2:SCRATCH_EN: 0
; COMPUTE_PGM_RSRC2:USER_SGPR: 6
; COMPUTE_PGM_RSRC2:TRAP_HANDLER: 0
; COMPUTE_PGM_RSRC2:TGID_X_EN: 1
; COMPUTE_PGM_RSRC2:TGID_Y_EN: 0
; COMPUTE_PGM_RSRC2:TGID_Z_EN: 0
; COMPUTE_PGM_RSRC2:TIDIG_COMP_CNT: 0
; COMPUTE_PGM_RSRC3_GFX90A:ACCUM_OFFSET: 12
; COMPUTE_PGM_RSRC3_GFX90A:TG_SPLIT: 0
	.section	.text._Z23fp32_router_gemm_kernelIfLi128ELi19ELi256ELi3072EEvPfPKT_PKf,"axG",@progbits,_Z23fp32_router_gemm_kernelIfLi128ELi19ELi256ELi3072EEvPfPKT_PKf,comdat
	.protected	_Z23fp32_router_gemm_kernelIfLi128ELi19ELi256ELi3072EEvPfPKT_PKf ; -- Begin function _Z23fp32_router_gemm_kernelIfLi128ELi19ELi256ELi3072EEvPfPKT_PKf
	.globl	_Z23fp32_router_gemm_kernelIfLi128ELi19ELi256ELi3072EEvPfPKT_PKf
	.p2align	8
	.type	_Z23fp32_router_gemm_kernelIfLi128ELi19ELi256ELi3072EEvPfPKT_PKf,@function
_Z23fp32_router_gemm_kernelIfLi128ELi19ELi256ELi3072EEvPfPKT_PKf: ; @_Z23fp32_router_gemm_kernelIfLi128ELi19ELi256ELi3072EEvPfPKT_PKf
; %bb.0:
	s_load_dwordx4 s[0:3], s[4:5], 0x0
	s_load_dwordx2 s[8:9], s[4:5], 0x10
	s_mul_i32 s4, s6, 0xc00
	s_ashr_i32 s5, s4, 31
	s_lshl_b64 s[4:5], s[4:5], 2
	v_lshlrev_b32_e32 v2, 2, v0
	s_waitcnt lgkmcnt(0)
	s_add_u32 s4, s8, s4
	v_or_b32_e32 v1, 0x200, v2
	v_or_b32_e32 v4, 0x400, v2
	;; [unrolled: 1-line block ×5, first 2 shown]
	s_addc_u32 s5, s9, s5
	s_mov_b64 s[8:9], 0
	v_mov_b32_e32 v33, 0
	v_mov_b32_e32 v34, s3
	s_movk_i32 s7, 0x3000
	s_movk_i32 s10, 0x6000
	s_mov_b32 s11, 0x9000
	s_mov_b32 s12, 0xc000
	;; [unrolled: 1-line block ×16, first 2 shown]
	v_mov_b32_e32 v32, 0
	v_mov_b32_e32 v31, 0
	v_mov_b32_e32 v30, 0
	v_mov_b32_e32 v29, 0
	v_mov_b32_e32 v28, 0
	v_mov_b32_e32 v27, 0
	v_mov_b32_e32 v26, 0
	v_mov_b32_e32 v25, 0
	v_mov_b32_e32 v24, 0
	v_mov_b32_e32 v23, 0
	v_mov_b32_e32 v22, 0
	v_mov_b32_e32 v21, 0
	v_mov_b32_e32 v20, 0
	v_mov_b32_e32 v19, 0
	v_mov_b32_e32 v18, 0
	v_mov_b32_e32 v17, 0
	v_mov_b32_e32 v16, 0
	v_mov_b32_e32 v7, 0
.LBB18_1:                               ; =>This Inner Loop Header: Depth=1
	s_cmp_eq_u32 s8, 1
	s_cselect_b64 vcc, -1, 0
	s_cmp_eq_u32 s8, 2
	v_cndmask_b32_e32 v8, v2, v1, vcc
	s_cselect_b64 vcc, -1, 0
	s_cmp_eq_u32 s8, 3
	v_cndmask_b32_e32 v8, v8, v4, vcc
	;; [unrolled: 3-line block ×4, first 2 shown]
	s_cselect_b64 vcc, -1, 0
	v_cndmask_b32_e32 v8, v8, v5, vcc
	v_lshlrev_b32_e32 v35, 2, v8
	v_add_co_u32_e32 v48, vcc, s2, v35
	v_addc_co_u32_e32 v49, vcc, 0, v34, vcc
	v_add_co_u32_e32 v44, vcc, s7, v48
	v_addc_co_u32_e32 v45, vcc, 0, v49, vcc
	;; [unrolled: 2-line block ×3, first 2 shown]
	global_load_dwordx4 v[36:39], v[44:45], off
	global_load_dwordx4 v[40:43], v[46:47], off
	global_load_dwordx4 v[8:11], v35, s[4:5]
	global_load_dwordx4 v[12:15], v35, s[2:3]
	v_add_co_u32_e32 v44, vcc, s11, v48
	v_addc_co_u32_e32 v45, vcc, 0, v49, vcc
	v_add_co_u32_e32 v46, vcc, s12, v48
	v_addc_co_u32_e32 v47, vcc, 0, v49, vcc
	s_add_u32 s8, s8, 1
	s_addc_u32 s9, s9, 0
	s_cmp_eq_u32 s8, 6
	s_waitcnt vmcnt(1)
	v_fmac_f32_e32 v32, v36, v8
	v_fmac_f32_e32 v31, v40, v8
	;; [unrolled: 1-line block ×8, first 2 shown]
	global_load_dwordx4 v[36:39], v[44:45], off
	global_load_dwordx4 v[40:43], v[46:47], off
	v_add_co_u32_e32 v44, vcc, s13, v48
	v_addc_co_u32_e32 v45, vcc, 0, v49, vcc
	v_add_co_u32_e32 v46, vcc, s14, v48
	v_addc_co_u32_e32 v47, vcc, 0, v49, vcc
	s_waitcnt vmcnt(1)
	v_fmac_f32_e32 v30, v36, v8
	s_waitcnt vmcnt(0)
	v_fmac_f32_e32 v29, v40, v8
	v_fmac_f32_e32 v30, v37, v9
	v_fmac_f32_e32 v29, v41, v9
	v_fmac_f32_e32 v30, v38, v10
	v_fmac_f32_e32 v29, v42, v10
	v_fmac_f32_e32 v30, v39, v11
	v_fmac_f32_e32 v29, v43, v11
	global_load_dwordx4 v[36:39], v[44:45], off
	global_load_dwordx4 v[40:43], v[46:47], off
	v_add_co_u32_e32 v44, vcc, s15, v48
	v_addc_co_u32_e32 v45, vcc, 0, v49, vcc
	v_add_co_u32_e32 v46, vcc, s16, v48
	v_addc_co_u32_e32 v47, vcc, 0, v49, vcc
	s_waitcnt vmcnt(1)
	v_fmac_f32_e32 v28, v36, v8
	s_waitcnt vmcnt(0)
	v_fmac_f32_e32 v27, v40, v8
	v_fmac_f32_e32 v28, v37, v9
	v_fmac_f32_e32 v27, v41, v9
	v_fmac_f32_e32 v28, v38, v10
	v_fmac_f32_e32 v27, v42, v10
	v_fmac_f32_e32 v28, v39, v11
	v_fmac_f32_e32 v27, v43, v11
	;; [unrolled: 16-line block ×7, first 2 shown]
	global_load_dwordx4 v[36:39], v[44:45], off
	global_load_dwordx4 v[40:43], v[46:47], off
	s_waitcnt vmcnt(1)
	v_fmac_f32_e32 v16, v36, v8
	s_waitcnt vmcnt(0)
	v_fmac_f32_e32 v7, v40, v8
	v_fmac_f32_e32 v16, v37, v9
	;; [unrolled: 1-line block ×3, first 2 shown]
	v_pk_mul_f32 v[8:9], v[12:13], v[8:9]
	v_fmac_f32_e32 v16, v38, v10
	v_fmac_f32_e32 v7, v42, v10
	v_add_f32_e32 v8, v8, v33
	v_fmac_f32_e32 v16, v39, v11
	v_fmac_f32_e32 v7, v43, v11
	v_pk_mul_f32 v[10:11], v[14:15], v[10:11]
	v_add_f32_e32 v8, v9, v8
	v_add_f32_e32 v8, v10, v8
	;; [unrolled: 1-line block ×3, first 2 shown]
	s_cbranch_scc0 .LBB18_1
; %bb.2:
	v_mbcnt_lo_u32_b32 v1, -1, 0
	v_mbcnt_hi_u32_b32 v5, -1, v1
	v_and_b32_e32 v2, 64, v5
	v_xor_b32_e32 v1, 16, v5
	v_add_u32_e32 v6, 64, v2
	v_cmp_lt_i32_e32 vcc, v1, v6
	v_cndmask_b32_e32 v1, v5, v1, vcc
	v_lshlrev_b32_e32 v1, 2, v1
	ds_bpermute_b32 v3, v1, v33
	v_xor_b32_e32 v2, 8, v5
	v_cmp_lt_i32_e32 vcc, v2, v6
	v_cndmask_b32_e32 v2, v5, v2, vcc
	v_lshlrev_b32_e32 v2, 2, v2
	s_waitcnt lgkmcnt(0)
	v_add_f32_e32 v4, v33, v3
	ds_bpermute_b32 v8, v2, v4
	v_xor_b32_e32 v3, 4, v5
	v_cmp_lt_i32_e32 vcc, v3, v6
	v_cndmask_b32_e32 v3, v5, v3, vcc
	v_lshlrev_b32_e32 v3, 2, v3
	s_waitcnt lgkmcnt(0)
	v_add_f32_e32 v8, v4, v8
	;; [unrolled: 7-line block ×4, first 2 shown]
	ds_bpermute_b32 v9, v6, v8
	v_lshrrev_b32_e32 v5, 5, v0
	v_and_b32_e32 v10, 31, v0
	v_cmp_eq_u32_e32 vcc, 0, v10
	v_lshlrev_b32_e32 v5, 2, v5
	s_and_saveexec_b64 s[2:3], vcc
	s_cbranch_execz .LBB18_4
; %bb.3:
	s_waitcnt lgkmcnt(0)
	v_add_f32_e32 v8, v8, v9
	ds_write_b32 v5, v8
.LBB18_4:
	s_or_b64 exec, exec, s[2:3]
	ds_bpermute_b32 v8, v1, v32
	s_waitcnt lgkmcnt(0)
	v_add_f32_e32 v8, v32, v8
	ds_bpermute_b32 v9, v2, v8
	s_waitcnt lgkmcnt(0)
	v_add_f32_e32 v8, v8, v9
	ds_bpermute_b32 v9, v3, v8
	s_waitcnt lgkmcnt(0)
	v_add_f32_e32 v8, v8, v9
	ds_bpermute_b32 v9, v4, v8
	s_waitcnt lgkmcnt(0)
	v_add_f32_e32 v8, v8, v9
	ds_bpermute_b32 v9, v6, v8
	s_and_saveexec_b64 s[2:3], vcc
	s_cbranch_execz .LBB18_6
; %bb.5:
	s_waitcnt lgkmcnt(0)
	v_add_f32_e32 v8, v8, v9
	ds_write_b32 v5, v8 offset:16
.LBB18_6:
	s_or_b64 exec, exec, s[2:3]
	ds_bpermute_b32 v8, v1, v31
	s_waitcnt lgkmcnt(0)
	v_add_f32_e32 v8, v31, v8
	ds_bpermute_b32 v9, v2, v8
	s_waitcnt lgkmcnt(0)
	v_add_f32_e32 v8, v8, v9
	ds_bpermute_b32 v9, v3, v8
	s_waitcnt lgkmcnt(0)
	v_add_f32_e32 v8, v8, v9
	ds_bpermute_b32 v9, v4, v8
	s_waitcnt lgkmcnt(0)
	v_add_f32_e32 v8, v8, v9
	ds_bpermute_b32 v9, v6, v8
	s_and_saveexec_b64 s[2:3], vcc
	s_cbranch_execz .LBB18_8
; %bb.7:
	s_waitcnt lgkmcnt(0)
	v_add_f32_e32 v8, v8, v9
	ds_write_b32 v5, v8 offset:32
.LBB18_8:
	;; [unrolled: 21-line block ×18, first 2 shown]
	s_or_b64 exec, exec, s[2:3]
	v_cmp_eq_u32_e32 vcc, 0, v0
	s_waitcnt lgkmcnt(0)
	s_barrier
	s_and_saveexec_b64 s[2:3], vcc
	s_cbranch_execz .LBB18_42
; %bb.41:
	v_mov_b32_e32 v16, 0
	ds_read_b128 v[0:3], v16
	s_ashr_i32 s7, s6, 31
	ds_read_b128 v[4:7], v16 offset:16
	ds_read_b128 v[8:11], v16 offset:32
	;; [unrolled: 1-line block ×3, first 2 shown]
	s_lshl_b64 s[2:3], s[6:7], 2
	s_add_u32 s0, s0, s2
	s_waitcnt lgkmcnt(3)
	v_add_f32_e32 v0, 0, v0
	v_add_f32_e32 v0, v0, v1
	v_add_f32_e32 v0, v0, v2
	v_add_f32_e32 v0, v0, v3
	s_addc_u32 s1, s1, s3
	global_store_dword v16, v0, s[0:1]
	s_waitcnt lgkmcnt(2)
	v_add_f32_e32 v0, 0, v4
	v_add_f32_e32 v0, v0, v5
	v_add_f32_e32 v0, v0, v6
	v_add_f32_e32 v0, v0, v7
	global_store_dword v16, v0, s[0:1] offset:1024
	s_waitcnt lgkmcnt(1)
	v_add_f32_e32 v0, 0, v8
	v_add_f32_e32 v0, v0, v9
	;; [unrolled: 1-line block ×4, first 2 shown]
	global_store_dword v16, v0, s[0:1] offset:2048
	s_waitcnt lgkmcnt(0)
	v_add_f32_e32 v0, 0, v12
	v_add_f32_e32 v4, v0, v13
	ds_read_b128 v[0:3], v16 offset:64
	v_add_f32_e32 v4, v4, v14
	v_add_f32_e32 v4, v4, v15
	global_store_dword v16, v4, s[0:1] offset:3072
	ds_read_b128 v[4:7], v16 offset:80
	s_waitcnt lgkmcnt(1)
	v_add_f32_e32 v0, 0, v0
	v_add_f32_e32 v0, v0, v1
	;; [unrolled: 1-line block ×4, first 2 shown]
	v_mov_b32_e32 v8, 0x1000
	global_store_dword v8, v0, s[0:1]
	s_waitcnt lgkmcnt(0)
	v_add_f32_e32 v0, 0, v4
	v_add_f32_e32 v4, v0, v5
	ds_read_b128 v[0:3], v16 offset:96
	v_add_f32_e32 v4, v4, v6
	v_add_f32_e32 v4, v4, v7
	global_store_dword v8, v4, s[0:1] offset:1024
	ds_read_b128 v[4:7], v16 offset:112
	s_waitcnt lgkmcnt(1)
	v_add_f32_e32 v0, 0, v0
	v_add_f32_e32 v0, v0, v1
	;; [unrolled: 1-line block ×4, first 2 shown]
	global_store_dword v8, v0, s[0:1] offset:2048
	s_waitcnt lgkmcnt(0)
	v_add_f32_e32 v0, 0, v4
	v_add_f32_e32 v4, v0, v5
	ds_read_b128 v[0:3], v16 offset:128
	v_add_f32_e32 v4, v4, v6
	v_add_f32_e32 v4, v4, v7
	global_store_dword v8, v4, s[0:1] offset:3072
	ds_read_b128 v[4:7], v16 offset:144
	s_waitcnt lgkmcnt(1)
	v_add_f32_e32 v0, 0, v0
	v_add_f32_e32 v0, v0, v1
	;; [unrolled: 1-line block ×4, first 2 shown]
	v_mov_b32_e32 v12, 0x2000
	global_store_dword v12, v0, s[0:1]
	ds_read_b128 v[0:3], v16 offset:160
	ds_read_b128 v[8:11], v16 offset:176
	s_waitcnt lgkmcnt(2)
	v_add_f32_e32 v4, 0, v4
	v_add_f32_e32 v4, v4, v5
	;; [unrolled: 1-line block ×3, first 2 shown]
	s_waitcnt lgkmcnt(1)
	v_add_f32_e32 v0, 0, v0
	v_add_f32_e32 v0, v0, v1
	;; [unrolled: 1-line block ×5, first 2 shown]
	global_store_dword v12, v0, s[0:1] offset:2048
	s_waitcnt lgkmcnt(0)
	v_add_f32_e32 v0, 0, v8
	global_store_dword v12, v4, s[0:1] offset:1024
	v_add_f32_e32 v4, v0, v9
	ds_read_b128 v[0:3], v16 offset:192
	v_add_f32_e32 v4, v4, v10
	v_add_f32_e32 v4, v4, v11
	global_store_dword v12, v4, s[0:1] offset:3072
	ds_read_b128 v[4:7], v16 offset:208
	s_waitcnt lgkmcnt(1)
	v_add_f32_e32 v0, 0, v0
	v_add_f32_e32 v0, v0, v1
	;; [unrolled: 1-line block ×4, first 2 shown]
	v_mov_b32_e32 v8, 0x3000
	global_store_dword v8, v0, s[0:1]
	s_waitcnt lgkmcnt(0)
	v_add_f32_e32 v0, 0, v4
	v_add_f32_e32 v4, v0, v5
	ds_read_b128 v[0:3], v16 offset:224
	v_add_f32_e32 v4, v4, v6
	v_add_f32_e32 v4, v4, v7
	global_store_dword v8, v4, s[0:1] offset:1024
	ds_read_b128 v[4:7], v16 offset:240
	s_waitcnt lgkmcnt(1)
	v_add_f32_e32 v0, 0, v0
	v_add_f32_e32 v0, v0, v1
	;; [unrolled: 1-line block ×4, first 2 shown]
	global_store_dword v8, v0, s[0:1] offset:2048
	s_waitcnt lgkmcnt(0)
	v_add_f32_e32 v0, 0, v4
	v_add_f32_e32 v4, v0, v5
	ds_read_b128 v[0:3], v16 offset:256
	v_add_f32_e32 v4, v4, v6
	v_add_f32_e32 v4, v4, v7
	global_store_dword v8, v4, s[0:1] offset:3072
	ds_read_b128 v[4:7], v16 offset:272
	s_waitcnt lgkmcnt(1)
	v_add_f32_e32 v0, 0, v0
	v_add_f32_e32 v0, v0, v1
	;; [unrolled: 1-line block ×4, first 2 shown]
	v_mov_b32_e32 v8, 0x4000
	global_store_dword v8, v0, s[0:1]
	ds_read_b128 v[0:3], v16 offset:288
	s_waitcnt lgkmcnt(1)
	v_add_f32_e32 v4, 0, v4
	v_add_f32_e32 v4, v4, v5
	;; [unrolled: 1-line block ×4, first 2 shown]
	s_waitcnt lgkmcnt(0)
	v_add_f32_e32 v0, 0, v0
	v_add_f32_e32 v0, v0, v1
	;; [unrolled: 1-line block ×4, first 2 shown]
	global_store_dword v8, v4, s[0:1] offset:1024
	global_store_dword v8, v0, s[0:1] offset:2048
.LBB18_42:
	s_endpgm
	.section	.rodata,"a",@progbits
	.p2align	6, 0x0
	.amdhsa_kernel _Z23fp32_router_gemm_kernelIfLi128ELi19ELi256ELi3072EEvPfPKT_PKf
		.amdhsa_group_segment_fixed_size 304
		.amdhsa_private_segment_fixed_size 0
		.amdhsa_kernarg_size 24
		.amdhsa_user_sgpr_count 6
		.amdhsa_user_sgpr_private_segment_buffer 1
		.amdhsa_user_sgpr_dispatch_ptr 0
		.amdhsa_user_sgpr_queue_ptr 0
		.amdhsa_user_sgpr_kernarg_segment_ptr 1
		.amdhsa_user_sgpr_dispatch_id 0
		.amdhsa_user_sgpr_flat_scratch_init 0
		.amdhsa_user_sgpr_kernarg_preload_length 0
		.amdhsa_user_sgpr_kernarg_preload_offset 0
		.amdhsa_user_sgpr_private_segment_size 0
		.amdhsa_uses_dynamic_stack 0
		.amdhsa_system_sgpr_private_segment_wavefront_offset 0
		.amdhsa_system_sgpr_workgroup_id_x 1
		.amdhsa_system_sgpr_workgroup_id_y 0
		.amdhsa_system_sgpr_workgroup_id_z 0
		.amdhsa_system_sgpr_workgroup_info 0
		.amdhsa_system_vgpr_workitem_id 0
		.amdhsa_next_free_vgpr 50
		.amdhsa_next_free_sgpr 27
		.amdhsa_accum_offset 52
		.amdhsa_reserve_vcc 1
		.amdhsa_reserve_flat_scratch 0
		.amdhsa_float_round_mode_32 0
		.amdhsa_float_round_mode_16_64 0
		.amdhsa_float_denorm_mode_32 3
		.amdhsa_float_denorm_mode_16_64 3
		.amdhsa_dx10_clamp 1
		.amdhsa_ieee_mode 1
		.amdhsa_fp16_overflow 0
		.amdhsa_tg_split 0
		.amdhsa_exception_fp_ieee_invalid_op 0
		.amdhsa_exception_fp_denorm_src 0
		.amdhsa_exception_fp_ieee_div_zero 0
		.amdhsa_exception_fp_ieee_overflow 0
		.amdhsa_exception_fp_ieee_underflow 0
		.amdhsa_exception_fp_ieee_inexact 0
		.amdhsa_exception_int_div_zero 0
	.end_amdhsa_kernel
	.section	.text._Z23fp32_router_gemm_kernelIfLi128ELi19ELi256ELi3072EEvPfPKT_PKf,"axG",@progbits,_Z23fp32_router_gemm_kernelIfLi128ELi19ELi256ELi3072EEvPfPKT_PKf,comdat
.Lfunc_end18:
	.size	_Z23fp32_router_gemm_kernelIfLi128ELi19ELi256ELi3072EEvPfPKT_PKf, .Lfunc_end18-_Z23fp32_router_gemm_kernelIfLi128ELi19ELi256ELi3072EEvPfPKT_PKf
                                        ; -- End function
	.section	.AMDGPU.csdata,"",@progbits
; Kernel info:
; codeLenInByte = 3868
; NumSgprs: 31
; NumVgprs: 50
; NumAgprs: 0
; TotalNumVgprs: 50
; ScratchSize: 0
; MemoryBound: 0
; FloatMode: 240
; IeeeMode: 1
; LDSByteSize: 304 bytes/workgroup (compile time only)
; SGPRBlocks: 3
; VGPRBlocks: 6
; NumSGPRsForWavesPerEU: 31
; NumVGPRsForWavesPerEU: 50
; AccumOffset: 52
; Occupancy: 8
; WaveLimiterHint : 1
; COMPUTE_PGM_RSRC2:SCRATCH_EN: 0
; COMPUTE_PGM_RSRC2:USER_SGPR: 6
; COMPUTE_PGM_RSRC2:TRAP_HANDLER: 0
; COMPUTE_PGM_RSRC2:TGID_X_EN: 1
; COMPUTE_PGM_RSRC2:TGID_Y_EN: 0
; COMPUTE_PGM_RSRC2:TGID_Z_EN: 0
; COMPUTE_PGM_RSRC2:TIDIG_COMP_CNT: 0
; COMPUTE_PGM_RSRC3_GFX90A:ACCUM_OFFSET: 12
; COMPUTE_PGM_RSRC3_GFX90A:TG_SPLIT: 0
	.section	.text._Z23fp32_router_gemm_kernelIfLi128ELi20ELi256ELi3072EEvPfPKT_PKf,"axG",@progbits,_Z23fp32_router_gemm_kernelIfLi128ELi20ELi256ELi3072EEvPfPKT_PKf,comdat
	.protected	_Z23fp32_router_gemm_kernelIfLi128ELi20ELi256ELi3072EEvPfPKT_PKf ; -- Begin function _Z23fp32_router_gemm_kernelIfLi128ELi20ELi256ELi3072EEvPfPKT_PKf
	.globl	_Z23fp32_router_gemm_kernelIfLi128ELi20ELi256ELi3072EEvPfPKT_PKf
	.p2align	8
	.type	_Z23fp32_router_gemm_kernelIfLi128ELi20ELi256ELi3072EEvPfPKT_PKf,@function
_Z23fp32_router_gemm_kernelIfLi128ELi20ELi256ELi3072EEvPfPKT_PKf: ; @_Z23fp32_router_gemm_kernelIfLi128ELi20ELi256ELi3072EEvPfPKT_PKf
; %bb.0:
	s_load_dwordx4 s[0:3], s[4:5], 0x0
	s_load_dwordx2 s[8:9], s[4:5], 0x10
	s_mul_i32 s4, s6, 0xc00
	s_ashr_i32 s5, s4, 31
	s_lshl_b64 s[4:5], s[4:5], 2
	v_lshlrev_b32_e32 v2, 2, v0
	s_waitcnt lgkmcnt(0)
	s_add_u32 s4, s8, s4
	v_or_b32_e32 v1, 0x200, v2
	v_or_b32_e32 v4, 0x400, v2
	;; [unrolled: 1-line block ×5, first 2 shown]
	s_addc_u32 s5, s9, s5
	s_mov_b64 s[8:9], 0
	v_mov_b32_e32 v34, 0
	v_mov_b32_e32 v35, s3
	s_movk_i32 s7, 0x3000
	s_movk_i32 s10, 0x6000
	s_mov_b32 s11, 0x9000
	s_mov_b32 s12, 0xc000
	;; [unrolled: 1-line block ×17, first 2 shown]
	v_mov_b32_e32 v33, 0
	v_mov_b32_e32 v32, 0
	;; [unrolled: 1-line block ×19, first 2 shown]
.LBB19_1:                               ; =>This Inner Loop Header: Depth=1
	s_cmp_eq_u32 s8, 1
	s_cselect_b64 vcc, -1, 0
	s_cmp_eq_u32 s8, 2
	v_cndmask_b32_e32 v8, v2, v1, vcc
	s_cselect_b64 vcc, -1, 0
	s_cmp_eq_u32 s8, 3
	v_cndmask_b32_e32 v8, v8, v4, vcc
	;; [unrolled: 3-line block ×4, first 2 shown]
	s_cselect_b64 vcc, -1, 0
	v_cndmask_b32_e32 v8, v8, v5, vcc
	v_lshlrev_b32_e32 v48, 2, v8
	v_add_co_u32_e32 v49, vcc, s2, v48
	v_addc_co_u32_e32 v50, vcc, 0, v35, vcc
	v_add_co_u32_e32 v44, vcc, s7, v49
	v_addc_co_u32_e32 v45, vcc, 0, v50, vcc
	;; [unrolled: 2-line block ×3, first 2 shown]
	global_load_dwordx4 v[36:39], v[44:45], off
	global_load_dwordx4 v[40:43], v[46:47], off
	global_load_dwordx4 v[8:11], v48, s[4:5]
	global_load_dwordx4 v[12:15], v48, s[2:3]
	v_add_co_u32_e32 v44, vcc, s11, v49
	v_addc_co_u32_e32 v45, vcc, 0, v50, vcc
	v_add_co_u32_e32 v46, vcc, s12, v49
	v_addc_co_u32_e32 v47, vcc, 0, v50, vcc
	s_add_u32 s8, s8, 1
	s_addc_u32 s9, s9, 0
	s_cmp_eq_u32 s8, 6
	s_waitcnt vmcnt(1)
	v_fmac_f32_e32 v33, v36, v8
	v_fmac_f32_e32 v32, v40, v8
	;; [unrolled: 1-line block ×8, first 2 shown]
	global_load_dwordx4 v[36:39], v[44:45], off
	global_load_dwordx4 v[40:43], v[46:47], off
	v_add_co_u32_e32 v44, vcc, s13, v49
	v_addc_co_u32_e32 v45, vcc, 0, v50, vcc
	v_add_co_u32_e32 v46, vcc, s14, v49
	v_addc_co_u32_e32 v47, vcc, 0, v50, vcc
	s_waitcnt vmcnt(1)
	v_fmac_f32_e32 v31, v36, v8
	s_waitcnt vmcnt(0)
	v_fmac_f32_e32 v30, v40, v8
	v_fmac_f32_e32 v31, v37, v9
	v_fmac_f32_e32 v30, v41, v9
	v_fmac_f32_e32 v31, v38, v10
	v_fmac_f32_e32 v30, v42, v10
	v_fmac_f32_e32 v31, v39, v11
	v_fmac_f32_e32 v30, v43, v11
	global_load_dwordx4 v[36:39], v[44:45], off
	global_load_dwordx4 v[40:43], v[46:47], off
	v_add_co_u32_e32 v44, vcc, s15, v49
	v_addc_co_u32_e32 v45, vcc, 0, v50, vcc
	v_add_co_u32_e32 v46, vcc, s16, v49
	v_addc_co_u32_e32 v47, vcc, 0, v50, vcc
	s_waitcnt vmcnt(1)
	v_fmac_f32_e32 v29, v36, v8
	s_waitcnt vmcnt(0)
	v_fmac_f32_e32 v28, v40, v8
	v_fmac_f32_e32 v29, v37, v9
	v_fmac_f32_e32 v28, v41, v9
	v_fmac_f32_e32 v29, v38, v10
	v_fmac_f32_e32 v28, v42, v10
	v_fmac_f32_e32 v29, v39, v11
	v_fmac_f32_e32 v28, v43, v11
	;; [unrolled: 16-line block ×7, first 2 shown]
	global_load_dwordx4 v[36:39], v[44:45], off
	global_load_dwordx4 v[40:43], v[46:47], off
	s_waitcnt vmcnt(1)
	v_fmac_f32_e32 v17, v36, v8
	v_fmac_f32_e32 v17, v37, v9
	v_add_co_u32_e32 v36, vcc, s27, v49
	v_fmac_f32_e32 v17, v38, v10
	v_addc_co_u32_e32 v37, vcc, 0, v50, vcc
	v_fmac_f32_e32 v17, v39, v11
	global_load_dwordx4 v[36:39], v[36:37], off
	s_waitcnt vmcnt(1)
	v_fmac_f32_e32 v16, v40, v8
	v_fmac_f32_e32 v16, v41, v9
	;; [unrolled: 1-line block ×4, first 2 shown]
	s_waitcnt vmcnt(0)
	v_fmac_f32_e32 v7, v36, v8
	v_fmac_f32_e32 v7, v37, v9
	v_pk_mul_f32 v[8:9], v[12:13], v[8:9]
	v_fmac_f32_e32 v7, v38, v10
	v_add_f32_e32 v8, v8, v34
	v_fmac_f32_e32 v7, v39, v11
	v_pk_mul_f32 v[10:11], v[14:15], v[10:11]
	v_add_f32_e32 v8, v9, v8
	v_add_f32_e32 v8, v10, v8
	;; [unrolled: 1-line block ×3, first 2 shown]
	s_cbranch_scc0 .LBB19_1
; %bb.2:
	v_mbcnt_lo_u32_b32 v1, -1, 0
	v_mbcnt_hi_u32_b32 v5, -1, v1
	v_and_b32_e32 v2, 64, v5
	v_xor_b32_e32 v1, 16, v5
	v_add_u32_e32 v6, 64, v2
	v_cmp_lt_i32_e32 vcc, v1, v6
	v_cndmask_b32_e32 v1, v5, v1, vcc
	v_lshlrev_b32_e32 v1, 2, v1
	ds_bpermute_b32 v3, v1, v34
	v_xor_b32_e32 v2, 8, v5
	v_cmp_lt_i32_e32 vcc, v2, v6
	v_cndmask_b32_e32 v2, v5, v2, vcc
	v_lshlrev_b32_e32 v2, 2, v2
	s_waitcnt lgkmcnt(0)
	v_add_f32_e32 v4, v34, v3
	ds_bpermute_b32 v8, v2, v4
	v_xor_b32_e32 v3, 4, v5
	v_cmp_lt_i32_e32 vcc, v3, v6
	v_cndmask_b32_e32 v3, v5, v3, vcc
	v_lshlrev_b32_e32 v3, 2, v3
	s_waitcnt lgkmcnt(0)
	v_add_f32_e32 v8, v4, v8
	;; [unrolled: 7-line block ×4, first 2 shown]
	ds_bpermute_b32 v9, v6, v8
	v_lshrrev_b32_e32 v5, 5, v0
	v_and_b32_e32 v10, 31, v0
	v_cmp_eq_u32_e32 vcc, 0, v10
	v_lshlrev_b32_e32 v5, 2, v5
	s_and_saveexec_b64 s[2:3], vcc
	s_cbranch_execz .LBB19_4
; %bb.3:
	s_waitcnt lgkmcnt(0)
	v_add_f32_e32 v8, v8, v9
	ds_write_b32 v5, v8
.LBB19_4:
	s_or_b64 exec, exec, s[2:3]
	ds_bpermute_b32 v8, v1, v33
	s_waitcnt lgkmcnt(0)
	v_add_f32_e32 v8, v33, v8
	ds_bpermute_b32 v9, v2, v8
	s_waitcnt lgkmcnt(0)
	v_add_f32_e32 v8, v8, v9
	ds_bpermute_b32 v9, v3, v8
	s_waitcnt lgkmcnt(0)
	v_add_f32_e32 v8, v8, v9
	ds_bpermute_b32 v9, v4, v8
	s_waitcnt lgkmcnt(0)
	v_add_f32_e32 v8, v8, v9
	ds_bpermute_b32 v9, v6, v8
	s_and_saveexec_b64 s[2:3], vcc
	s_cbranch_execz .LBB19_6
; %bb.5:
	s_waitcnt lgkmcnt(0)
	v_add_f32_e32 v8, v8, v9
	ds_write_b32 v5, v8 offset:16
.LBB19_6:
	s_or_b64 exec, exec, s[2:3]
	ds_bpermute_b32 v8, v1, v32
	s_waitcnt lgkmcnt(0)
	v_add_f32_e32 v8, v32, v8
	ds_bpermute_b32 v9, v2, v8
	s_waitcnt lgkmcnt(0)
	v_add_f32_e32 v8, v8, v9
	ds_bpermute_b32 v9, v3, v8
	s_waitcnt lgkmcnt(0)
	v_add_f32_e32 v8, v8, v9
	ds_bpermute_b32 v9, v4, v8
	s_waitcnt lgkmcnt(0)
	v_add_f32_e32 v8, v8, v9
	ds_bpermute_b32 v9, v6, v8
	s_and_saveexec_b64 s[2:3], vcc
	s_cbranch_execz .LBB19_8
; %bb.7:
	s_waitcnt lgkmcnt(0)
	v_add_f32_e32 v8, v8, v9
	ds_write_b32 v5, v8 offset:32
.LBB19_8:
	;; [unrolled: 21-line block ×19, first 2 shown]
	s_or_b64 exec, exec, s[2:3]
	v_cmp_eq_u32_e32 vcc, 0, v0
	s_waitcnt lgkmcnt(0)
	s_barrier
	s_and_saveexec_b64 s[2:3], vcc
	s_cbranch_execz .LBB19_44
; %bb.43:
	v_mov_b32_e32 v16, 0
	ds_read_b128 v[0:3], v16
	s_ashr_i32 s7, s6, 31
	ds_read_b128 v[4:7], v16 offset:16
	ds_read_b128 v[8:11], v16 offset:32
	ds_read_b128 v[12:15], v16 offset:48
	s_lshl_b64 s[2:3], s[6:7], 2
	s_add_u32 s0, s0, s2
	s_waitcnt lgkmcnt(3)
	v_add_f32_e32 v0, 0, v0
	v_add_f32_e32 v0, v0, v1
	;; [unrolled: 1-line block ×4, first 2 shown]
	s_addc_u32 s1, s1, s3
	global_store_dword v16, v0, s[0:1]
	s_waitcnt lgkmcnt(2)
	v_add_f32_e32 v0, 0, v4
	v_add_f32_e32 v0, v0, v5
	;; [unrolled: 1-line block ×4, first 2 shown]
	global_store_dword v16, v0, s[0:1] offset:1024
	s_waitcnt lgkmcnt(1)
	v_add_f32_e32 v0, 0, v8
	v_add_f32_e32 v0, v0, v9
	;; [unrolled: 1-line block ×4, first 2 shown]
	global_store_dword v16, v0, s[0:1] offset:2048
	s_waitcnt lgkmcnt(0)
	v_add_f32_e32 v0, 0, v12
	v_add_f32_e32 v4, v0, v13
	ds_read_b128 v[0:3], v16 offset:64
	v_add_f32_e32 v4, v4, v14
	v_add_f32_e32 v4, v4, v15
	global_store_dword v16, v4, s[0:1] offset:3072
	ds_read_b128 v[4:7], v16 offset:80
	s_waitcnt lgkmcnt(1)
	v_add_f32_e32 v0, 0, v0
	v_add_f32_e32 v0, v0, v1
	;; [unrolled: 1-line block ×4, first 2 shown]
	v_mov_b32_e32 v8, 0x1000
	global_store_dword v8, v0, s[0:1]
	s_waitcnt lgkmcnt(0)
	v_add_f32_e32 v0, 0, v4
	v_add_f32_e32 v4, v0, v5
	ds_read_b128 v[0:3], v16 offset:96
	v_add_f32_e32 v4, v4, v6
	v_add_f32_e32 v4, v4, v7
	global_store_dword v8, v4, s[0:1] offset:1024
	ds_read_b128 v[4:7], v16 offset:112
	s_waitcnt lgkmcnt(1)
	v_add_f32_e32 v0, 0, v0
	v_add_f32_e32 v0, v0, v1
	v_add_f32_e32 v0, v0, v2
	v_add_f32_e32 v0, v0, v3
	global_store_dword v8, v0, s[0:1] offset:2048
	s_waitcnt lgkmcnt(0)
	v_add_f32_e32 v0, 0, v4
	v_add_f32_e32 v4, v0, v5
	ds_read_b128 v[0:3], v16 offset:128
	v_add_f32_e32 v4, v4, v6
	v_add_f32_e32 v4, v4, v7
	global_store_dword v8, v4, s[0:1] offset:3072
	ds_read_b128 v[4:7], v16 offset:144
	s_waitcnt lgkmcnt(1)
	v_add_f32_e32 v0, 0, v0
	v_add_f32_e32 v0, v0, v1
	;; [unrolled: 1-line block ×4, first 2 shown]
	v_mov_b32_e32 v12, 0x2000
	global_store_dword v12, v0, s[0:1]
	ds_read_b128 v[0:3], v16 offset:160
	ds_read_b128 v[8:11], v16 offset:176
	s_waitcnt lgkmcnt(2)
	v_add_f32_e32 v4, 0, v4
	v_add_f32_e32 v4, v4, v5
	;; [unrolled: 1-line block ×3, first 2 shown]
	s_waitcnt lgkmcnt(1)
	v_add_f32_e32 v0, 0, v0
	v_add_f32_e32 v0, v0, v1
	;; [unrolled: 1-line block ×5, first 2 shown]
	global_store_dword v12, v0, s[0:1] offset:2048
	s_waitcnt lgkmcnt(0)
	v_add_f32_e32 v0, 0, v8
	global_store_dword v12, v4, s[0:1] offset:1024
	v_add_f32_e32 v4, v0, v9
	ds_read_b128 v[0:3], v16 offset:192
	v_add_f32_e32 v4, v4, v10
	v_add_f32_e32 v4, v4, v11
	global_store_dword v12, v4, s[0:1] offset:3072
	ds_read_b128 v[4:7], v16 offset:208
	s_waitcnt lgkmcnt(1)
	v_add_f32_e32 v0, 0, v0
	v_add_f32_e32 v0, v0, v1
	;; [unrolled: 1-line block ×4, first 2 shown]
	v_mov_b32_e32 v8, 0x3000
	global_store_dword v8, v0, s[0:1]
	s_waitcnt lgkmcnt(0)
	v_add_f32_e32 v0, 0, v4
	v_add_f32_e32 v4, v0, v5
	ds_read_b128 v[0:3], v16 offset:224
	v_add_f32_e32 v4, v4, v6
	v_add_f32_e32 v4, v4, v7
	global_store_dword v8, v4, s[0:1] offset:1024
	ds_read_b128 v[4:7], v16 offset:240
	s_waitcnt lgkmcnt(1)
	v_add_f32_e32 v0, 0, v0
	v_add_f32_e32 v0, v0, v1
	;; [unrolled: 1-line block ×4, first 2 shown]
	global_store_dword v8, v0, s[0:1] offset:2048
	s_waitcnt lgkmcnt(0)
	v_add_f32_e32 v0, 0, v4
	v_add_f32_e32 v4, v0, v5
	ds_read_b128 v[0:3], v16 offset:256
	v_add_f32_e32 v4, v4, v6
	v_add_f32_e32 v4, v4, v7
	global_store_dword v8, v4, s[0:1] offset:3072
	ds_read_b128 v[4:7], v16 offset:272
	s_waitcnt lgkmcnt(1)
	v_add_f32_e32 v0, 0, v0
	v_add_f32_e32 v0, v0, v1
	;; [unrolled: 1-line block ×4, first 2 shown]
	v_mov_b32_e32 v12, 0x4000
	global_store_dword v12, v0, s[0:1]
	ds_read_b128 v[0:3], v16 offset:288
	ds_read_b128 v[8:11], v16 offset:304
	s_waitcnt lgkmcnt(2)
	v_add_f32_e32 v4, 0, v4
	v_add_f32_e32 v4, v4, v5
	;; [unrolled: 1-line block ×3, first 2 shown]
	s_waitcnt lgkmcnt(1)
	v_add_f32_e32 v0, 0, v0
	v_add_f32_e32 v0, v0, v1
	;; [unrolled: 1-line block ×4, first 2 shown]
	global_store_dword v12, v0, s[0:1] offset:2048
	s_waitcnt lgkmcnt(0)
	v_add_f32_e32 v0, 0, v8
	v_add_f32_e32 v0, v0, v9
	;; [unrolled: 1-line block ×5, first 2 shown]
	global_store_dword v12, v4, s[0:1] offset:1024
	global_store_dword v12, v0, s[0:1] offset:3072
.LBB19_44:
	s_endpgm
	.section	.rodata,"a",@progbits
	.p2align	6, 0x0
	.amdhsa_kernel _Z23fp32_router_gemm_kernelIfLi128ELi20ELi256ELi3072EEvPfPKT_PKf
		.amdhsa_group_segment_fixed_size 320
		.amdhsa_private_segment_fixed_size 0
		.amdhsa_kernarg_size 24
		.amdhsa_user_sgpr_count 6
		.amdhsa_user_sgpr_private_segment_buffer 1
		.amdhsa_user_sgpr_dispatch_ptr 0
		.amdhsa_user_sgpr_queue_ptr 0
		.amdhsa_user_sgpr_kernarg_segment_ptr 1
		.amdhsa_user_sgpr_dispatch_id 0
		.amdhsa_user_sgpr_flat_scratch_init 0
		.amdhsa_user_sgpr_kernarg_preload_length 0
		.amdhsa_user_sgpr_kernarg_preload_offset 0
		.amdhsa_user_sgpr_private_segment_size 0
		.amdhsa_uses_dynamic_stack 0
		.amdhsa_system_sgpr_private_segment_wavefront_offset 0
		.amdhsa_system_sgpr_workgroup_id_x 1
		.amdhsa_system_sgpr_workgroup_id_y 0
		.amdhsa_system_sgpr_workgroup_id_z 0
		.amdhsa_system_sgpr_workgroup_info 0
		.amdhsa_system_vgpr_workitem_id 0
		.amdhsa_next_free_vgpr 51
		.amdhsa_next_free_sgpr 28
		.amdhsa_accum_offset 52
		.amdhsa_reserve_vcc 1
		.amdhsa_reserve_flat_scratch 0
		.amdhsa_float_round_mode_32 0
		.amdhsa_float_round_mode_16_64 0
		.amdhsa_float_denorm_mode_32 3
		.amdhsa_float_denorm_mode_16_64 3
		.amdhsa_dx10_clamp 1
		.amdhsa_ieee_mode 1
		.amdhsa_fp16_overflow 0
		.amdhsa_tg_split 0
		.amdhsa_exception_fp_ieee_invalid_op 0
		.amdhsa_exception_fp_denorm_src 0
		.amdhsa_exception_fp_ieee_div_zero 0
		.amdhsa_exception_fp_ieee_overflow 0
		.amdhsa_exception_fp_ieee_underflow 0
		.amdhsa_exception_fp_ieee_inexact 0
		.amdhsa_exception_int_div_zero 0
	.end_amdhsa_kernel
	.section	.text._Z23fp32_router_gemm_kernelIfLi128ELi20ELi256ELi3072EEvPfPKT_PKf,"axG",@progbits,_Z23fp32_router_gemm_kernelIfLi128ELi20ELi256ELi3072EEvPfPKT_PKf,comdat
.Lfunc_end19:
	.size	_Z23fp32_router_gemm_kernelIfLi128ELi20ELi256ELi3072EEvPfPKT_PKf, .Lfunc_end19-_Z23fp32_router_gemm_kernelIfLi128ELi20ELi256ELi3072EEvPfPKT_PKf
                                        ; -- End function
	.section	.AMDGPU.csdata,"",@progbits
; Kernel info:
; codeLenInByte = 4052
; NumSgprs: 32
; NumVgprs: 51
; NumAgprs: 0
; TotalNumVgprs: 51
; ScratchSize: 0
; MemoryBound: 0
; FloatMode: 240
; IeeeMode: 1
; LDSByteSize: 320 bytes/workgroup (compile time only)
; SGPRBlocks: 3
; VGPRBlocks: 6
; NumSGPRsForWavesPerEU: 32
; NumVGPRsForWavesPerEU: 51
; AccumOffset: 52
; Occupancy: 8
; WaveLimiterHint : 1
; COMPUTE_PGM_RSRC2:SCRATCH_EN: 0
; COMPUTE_PGM_RSRC2:USER_SGPR: 6
; COMPUTE_PGM_RSRC2:TRAP_HANDLER: 0
; COMPUTE_PGM_RSRC2:TGID_X_EN: 1
; COMPUTE_PGM_RSRC2:TGID_Y_EN: 0
; COMPUTE_PGM_RSRC2:TGID_Z_EN: 0
; COMPUTE_PGM_RSRC2:TIDIG_COMP_CNT: 0
; COMPUTE_PGM_RSRC3_GFX90A:ACCUM_OFFSET: 12
; COMPUTE_PGM_RSRC3_GFX90A:TG_SPLIT: 0
	.section	.text._Z23fp32_router_gemm_kernelIfLi128ELi21ELi256ELi3072EEvPfPKT_PKf,"axG",@progbits,_Z23fp32_router_gemm_kernelIfLi128ELi21ELi256ELi3072EEvPfPKT_PKf,comdat
	.protected	_Z23fp32_router_gemm_kernelIfLi128ELi21ELi256ELi3072EEvPfPKT_PKf ; -- Begin function _Z23fp32_router_gemm_kernelIfLi128ELi21ELi256ELi3072EEvPfPKT_PKf
	.globl	_Z23fp32_router_gemm_kernelIfLi128ELi21ELi256ELi3072EEvPfPKT_PKf
	.p2align	8
	.type	_Z23fp32_router_gemm_kernelIfLi128ELi21ELi256ELi3072EEvPfPKT_PKf,@function
_Z23fp32_router_gemm_kernelIfLi128ELi21ELi256ELi3072EEvPfPKT_PKf: ; @_Z23fp32_router_gemm_kernelIfLi128ELi21ELi256ELi3072EEvPfPKT_PKf
; %bb.0:
	s_load_dwordx4 s[0:3], s[4:5], 0x0
	s_load_dwordx2 s[8:9], s[4:5], 0x10
	s_mul_i32 s4, s6, 0xc00
	s_ashr_i32 s5, s4, 31
	s_lshl_b64 s[4:5], s[4:5], 2
	v_lshlrev_b32_e32 v2, 2, v0
	s_waitcnt lgkmcnt(0)
	s_add_u32 s4, s8, s4
	v_or_b32_e32 v1, 0x200, v2
	v_or_b32_e32 v4, 0x400, v2
	;; [unrolled: 1-line block ×5, first 2 shown]
	s_addc_u32 s5, s9, s5
	s_mov_b64 s[8:9], 0
	v_mov_b32_e32 v35, 0
	v_mov_b32_e32 v36, s3
	s_movk_i32 s7, 0x3000
	s_movk_i32 s10, 0x6000
	s_mov_b32 s11, 0x9000
	s_mov_b32 s12, 0xc000
	;; [unrolled: 1-line block ×18, first 2 shown]
	v_mov_b32_e32 v34, 0
	v_mov_b32_e32 v33, 0
	;; [unrolled: 1-line block ×20, first 2 shown]
.LBB20_1:                               ; =>This Inner Loop Header: Depth=1
	s_cmp_eq_u32 s8, 1
	s_cselect_b64 vcc, -1, 0
	s_cmp_eq_u32 s8, 2
	v_cndmask_b32_e32 v8, v2, v1, vcc
	s_cselect_b64 vcc, -1, 0
	s_cmp_eq_u32 s8, 3
	v_cndmask_b32_e32 v8, v8, v4, vcc
	;; [unrolled: 3-line block ×4, first 2 shown]
	s_cselect_b64 vcc, -1, 0
	v_cndmask_b32_e32 v8, v8, v5, vcc
	v_lshlrev_b32_e32 v37, 2, v8
	v_add_co_u32_e32 v50, vcc, s2, v37
	v_addc_co_u32_e32 v51, vcc, 0, v36, vcc
	v_add_co_u32_e32 v46, vcc, s7, v50
	v_addc_co_u32_e32 v47, vcc, 0, v51, vcc
	;; [unrolled: 2-line block ×3, first 2 shown]
	global_load_dwordx4 v[38:41], v[46:47], off
	global_load_dwordx4 v[42:45], v[48:49], off
	global_load_dwordx4 v[8:11], v37, s[4:5]
	global_load_dwordx4 v[12:15], v37, s[2:3]
	v_add_co_u32_e32 v46, vcc, s11, v50
	v_addc_co_u32_e32 v47, vcc, 0, v51, vcc
	v_add_co_u32_e32 v48, vcc, s12, v50
	v_addc_co_u32_e32 v49, vcc, 0, v51, vcc
	s_add_u32 s8, s8, 1
	s_addc_u32 s9, s9, 0
	s_cmp_eq_u32 s8, 6
	s_waitcnt vmcnt(1)
	v_fmac_f32_e32 v34, v38, v8
	v_fmac_f32_e32 v33, v42, v8
	;; [unrolled: 1-line block ×8, first 2 shown]
	global_load_dwordx4 v[38:41], v[46:47], off
	global_load_dwordx4 v[42:45], v[48:49], off
	v_add_co_u32_e32 v46, vcc, s13, v50
	v_addc_co_u32_e32 v47, vcc, 0, v51, vcc
	v_add_co_u32_e32 v48, vcc, s14, v50
	v_addc_co_u32_e32 v49, vcc, 0, v51, vcc
	s_waitcnt vmcnt(1)
	v_fmac_f32_e32 v32, v38, v8
	s_waitcnt vmcnt(0)
	v_fmac_f32_e32 v31, v42, v8
	v_fmac_f32_e32 v32, v39, v9
	v_fmac_f32_e32 v31, v43, v9
	v_fmac_f32_e32 v32, v40, v10
	v_fmac_f32_e32 v31, v44, v10
	v_fmac_f32_e32 v32, v41, v11
	v_fmac_f32_e32 v31, v45, v11
	global_load_dwordx4 v[38:41], v[46:47], off
	global_load_dwordx4 v[42:45], v[48:49], off
	v_add_co_u32_e32 v46, vcc, s15, v50
	v_addc_co_u32_e32 v47, vcc, 0, v51, vcc
	v_add_co_u32_e32 v48, vcc, s16, v50
	v_addc_co_u32_e32 v49, vcc, 0, v51, vcc
	s_waitcnt vmcnt(1)
	v_fmac_f32_e32 v30, v38, v8
	s_waitcnt vmcnt(0)
	v_fmac_f32_e32 v29, v42, v8
	v_fmac_f32_e32 v30, v39, v9
	v_fmac_f32_e32 v29, v43, v9
	v_fmac_f32_e32 v30, v40, v10
	v_fmac_f32_e32 v29, v44, v10
	v_fmac_f32_e32 v30, v41, v11
	v_fmac_f32_e32 v29, v45, v11
	;; [unrolled: 16-line block ×8, first 2 shown]
	global_load_dwordx4 v[38:41], v[46:47], off
	global_load_dwordx4 v[42:45], v[48:49], off
	s_waitcnt vmcnt(1)
	v_fmac_f32_e32 v16, v38, v8
	s_waitcnt vmcnt(0)
	v_fmac_f32_e32 v7, v42, v8
	v_fmac_f32_e32 v16, v39, v9
	;; [unrolled: 1-line block ×3, first 2 shown]
	v_pk_mul_f32 v[8:9], v[12:13], v[8:9]
	v_fmac_f32_e32 v16, v40, v10
	v_fmac_f32_e32 v7, v44, v10
	v_add_f32_e32 v8, v8, v35
	v_fmac_f32_e32 v16, v41, v11
	v_fmac_f32_e32 v7, v45, v11
	v_pk_mul_f32 v[10:11], v[14:15], v[10:11]
	v_add_f32_e32 v8, v9, v8
	v_add_f32_e32 v8, v10, v8
	v_add_f32_e32 v35, v11, v8
	s_cbranch_scc0 .LBB20_1
; %bb.2:
	v_mbcnt_lo_u32_b32 v1, -1, 0
	v_mbcnt_hi_u32_b32 v5, -1, v1
	v_and_b32_e32 v2, 64, v5
	v_xor_b32_e32 v1, 16, v5
	v_add_u32_e32 v6, 64, v2
	v_cmp_lt_i32_e32 vcc, v1, v6
	v_cndmask_b32_e32 v1, v5, v1, vcc
	v_lshlrev_b32_e32 v1, 2, v1
	ds_bpermute_b32 v3, v1, v35
	v_xor_b32_e32 v2, 8, v5
	v_cmp_lt_i32_e32 vcc, v2, v6
	v_cndmask_b32_e32 v2, v5, v2, vcc
	v_lshlrev_b32_e32 v2, 2, v2
	s_waitcnt lgkmcnt(0)
	v_add_f32_e32 v4, v35, v3
	ds_bpermute_b32 v8, v2, v4
	v_xor_b32_e32 v3, 4, v5
	v_cmp_lt_i32_e32 vcc, v3, v6
	v_cndmask_b32_e32 v3, v5, v3, vcc
	v_lshlrev_b32_e32 v3, 2, v3
	s_waitcnt lgkmcnt(0)
	v_add_f32_e32 v8, v4, v8
	;; [unrolled: 7-line block ×4, first 2 shown]
	ds_bpermute_b32 v9, v6, v8
	v_lshrrev_b32_e32 v5, 5, v0
	v_and_b32_e32 v10, 31, v0
	v_cmp_eq_u32_e32 vcc, 0, v10
	v_lshlrev_b32_e32 v5, 2, v5
	s_and_saveexec_b64 s[2:3], vcc
	s_cbranch_execz .LBB20_4
; %bb.3:
	s_waitcnt lgkmcnt(0)
	v_add_f32_e32 v8, v8, v9
	ds_write_b32 v5, v8
.LBB20_4:
	s_or_b64 exec, exec, s[2:3]
	ds_bpermute_b32 v8, v1, v34
	s_waitcnt lgkmcnt(0)
	v_add_f32_e32 v8, v34, v8
	ds_bpermute_b32 v9, v2, v8
	s_waitcnt lgkmcnt(0)
	v_add_f32_e32 v8, v8, v9
	ds_bpermute_b32 v9, v3, v8
	s_waitcnt lgkmcnt(0)
	v_add_f32_e32 v8, v8, v9
	ds_bpermute_b32 v9, v4, v8
	s_waitcnt lgkmcnt(0)
	v_add_f32_e32 v8, v8, v9
	ds_bpermute_b32 v9, v6, v8
	s_and_saveexec_b64 s[2:3], vcc
	s_cbranch_execz .LBB20_6
; %bb.5:
	s_waitcnt lgkmcnt(0)
	v_add_f32_e32 v8, v8, v9
	ds_write_b32 v5, v8 offset:16
.LBB20_6:
	s_or_b64 exec, exec, s[2:3]
	ds_bpermute_b32 v8, v1, v33
	s_waitcnt lgkmcnt(0)
	v_add_f32_e32 v8, v33, v8
	ds_bpermute_b32 v9, v2, v8
	s_waitcnt lgkmcnt(0)
	v_add_f32_e32 v8, v8, v9
	ds_bpermute_b32 v9, v3, v8
	s_waitcnt lgkmcnt(0)
	v_add_f32_e32 v8, v8, v9
	ds_bpermute_b32 v9, v4, v8
	s_waitcnt lgkmcnt(0)
	v_add_f32_e32 v8, v8, v9
	ds_bpermute_b32 v9, v6, v8
	s_and_saveexec_b64 s[2:3], vcc
	s_cbranch_execz .LBB20_8
; %bb.7:
	s_waitcnt lgkmcnt(0)
	v_add_f32_e32 v8, v8, v9
	ds_write_b32 v5, v8 offset:32
.LBB20_8:
	;; [unrolled: 21-line block ×20, first 2 shown]
	s_or_b64 exec, exec, s[2:3]
	v_cmp_eq_u32_e32 vcc, 0, v0
	s_waitcnt lgkmcnt(0)
	s_barrier
	s_and_saveexec_b64 s[2:3], vcc
	s_cbranch_execz .LBB20_46
; %bb.45:
	v_mov_b32_e32 v16, 0
	ds_read_b128 v[0:3], v16
	s_ashr_i32 s7, s6, 31
	ds_read_b128 v[4:7], v16 offset:16
	ds_read_b128 v[8:11], v16 offset:32
	;; [unrolled: 1-line block ×3, first 2 shown]
	s_lshl_b64 s[2:3], s[6:7], 2
	s_add_u32 s0, s0, s2
	s_waitcnt lgkmcnt(3)
	v_add_f32_e32 v0, 0, v0
	v_add_f32_e32 v0, v0, v1
	;; [unrolled: 1-line block ×4, first 2 shown]
	s_addc_u32 s1, s1, s3
	global_store_dword v16, v0, s[0:1]
	s_waitcnt lgkmcnt(2)
	v_add_f32_e32 v0, 0, v4
	v_add_f32_e32 v0, v0, v5
	;; [unrolled: 1-line block ×4, first 2 shown]
	global_store_dword v16, v0, s[0:1] offset:1024
	s_waitcnt lgkmcnt(1)
	v_add_f32_e32 v0, 0, v8
	v_add_f32_e32 v0, v0, v9
	;; [unrolled: 1-line block ×4, first 2 shown]
	global_store_dword v16, v0, s[0:1] offset:2048
	s_waitcnt lgkmcnt(0)
	v_add_f32_e32 v0, 0, v12
	v_add_f32_e32 v4, v0, v13
	ds_read_b128 v[0:3], v16 offset:64
	v_add_f32_e32 v4, v4, v14
	v_add_f32_e32 v4, v4, v15
	global_store_dword v16, v4, s[0:1] offset:3072
	ds_read_b128 v[4:7], v16 offset:80
	s_waitcnt lgkmcnt(1)
	v_add_f32_e32 v0, 0, v0
	v_add_f32_e32 v0, v0, v1
	;; [unrolled: 1-line block ×4, first 2 shown]
	v_mov_b32_e32 v8, 0x1000
	global_store_dword v8, v0, s[0:1]
	s_waitcnt lgkmcnt(0)
	v_add_f32_e32 v0, 0, v4
	v_add_f32_e32 v4, v0, v5
	ds_read_b128 v[0:3], v16 offset:96
	v_add_f32_e32 v4, v4, v6
	v_add_f32_e32 v4, v4, v7
	global_store_dword v8, v4, s[0:1] offset:1024
	ds_read_b128 v[4:7], v16 offset:112
	s_waitcnt lgkmcnt(1)
	v_add_f32_e32 v0, 0, v0
	v_add_f32_e32 v0, v0, v1
	;; [unrolled: 1-line block ×4, first 2 shown]
	global_store_dword v8, v0, s[0:1] offset:2048
	s_waitcnt lgkmcnt(0)
	v_add_f32_e32 v0, 0, v4
	v_add_f32_e32 v4, v0, v5
	ds_read_b128 v[0:3], v16 offset:128
	v_add_f32_e32 v4, v4, v6
	v_add_f32_e32 v4, v4, v7
	global_store_dword v8, v4, s[0:1] offset:3072
	ds_read_b128 v[4:7], v16 offset:144
	s_waitcnt lgkmcnt(1)
	v_add_f32_e32 v0, 0, v0
	v_add_f32_e32 v0, v0, v1
	;; [unrolled: 1-line block ×4, first 2 shown]
	v_mov_b32_e32 v12, 0x2000
	global_store_dword v12, v0, s[0:1]
	ds_read_b128 v[0:3], v16 offset:160
	ds_read_b128 v[8:11], v16 offset:176
	s_waitcnt lgkmcnt(2)
	v_add_f32_e32 v4, 0, v4
	v_add_f32_e32 v4, v4, v5
	;; [unrolled: 1-line block ×3, first 2 shown]
	s_waitcnt lgkmcnt(1)
	v_add_f32_e32 v0, 0, v0
	v_add_f32_e32 v0, v0, v1
	;; [unrolled: 1-line block ×5, first 2 shown]
	global_store_dword v12, v0, s[0:1] offset:2048
	s_waitcnt lgkmcnt(0)
	v_add_f32_e32 v0, 0, v8
	global_store_dword v12, v4, s[0:1] offset:1024
	v_add_f32_e32 v4, v0, v9
	ds_read_b128 v[0:3], v16 offset:192
	v_add_f32_e32 v4, v4, v10
	v_add_f32_e32 v4, v4, v11
	global_store_dword v12, v4, s[0:1] offset:3072
	ds_read_b128 v[4:7], v16 offset:208
	s_waitcnt lgkmcnt(1)
	v_add_f32_e32 v0, 0, v0
	v_add_f32_e32 v0, v0, v1
	;; [unrolled: 1-line block ×4, first 2 shown]
	v_mov_b32_e32 v8, 0x3000
	global_store_dword v8, v0, s[0:1]
	s_waitcnt lgkmcnt(0)
	v_add_f32_e32 v0, 0, v4
	v_add_f32_e32 v4, v0, v5
	ds_read_b128 v[0:3], v16 offset:224
	v_add_f32_e32 v4, v4, v6
	v_add_f32_e32 v4, v4, v7
	global_store_dword v8, v4, s[0:1] offset:1024
	ds_read_b128 v[4:7], v16 offset:240
	s_waitcnt lgkmcnt(1)
	v_add_f32_e32 v0, 0, v0
	v_add_f32_e32 v0, v0, v1
	;; [unrolled: 1-line block ×4, first 2 shown]
	global_store_dword v8, v0, s[0:1] offset:2048
	s_waitcnt lgkmcnt(0)
	v_add_f32_e32 v0, 0, v4
	v_add_f32_e32 v4, v0, v5
	ds_read_b128 v[0:3], v16 offset:256
	v_add_f32_e32 v4, v4, v6
	v_add_f32_e32 v4, v4, v7
	global_store_dword v8, v4, s[0:1] offset:3072
	ds_read_b128 v[4:7], v16 offset:272
	s_waitcnt lgkmcnt(1)
	v_add_f32_e32 v0, 0, v0
	v_add_f32_e32 v0, v0, v1
	;; [unrolled: 1-line block ×4, first 2 shown]
	v_mov_b32_e32 v17, 0x4000
	global_store_dword v17, v0, s[0:1]
	ds_read_b128 v[0:3], v16 offset:288
	ds_read_b128 v[8:11], v16 offset:304
	;; [unrolled: 1-line block ×3, first 2 shown]
	s_waitcnt lgkmcnt(3)
	v_add_f32_e32 v4, 0, v4
	v_add_f32_e32 v4, v4, v5
	s_waitcnt lgkmcnt(2)
	v_add_f32_e32 v0, 0, v0
	v_add_f32_e32 v0, v0, v1
	;; [unrolled: 1-line block ×4, first 2 shown]
	global_store_dword v17, v0, s[0:1] offset:2048
	s_waitcnt lgkmcnt(1)
	v_add_f32_e32 v0, 0, v8
	v_add_f32_e32 v0, v0, v9
	v_add_f32_e32 v0, v0, v10
	v_add_f32_e32 v0, v0, v11
	global_store_dword v17, v0, s[0:1] offset:3072
	s_waitcnt lgkmcnt(0)
	v_add_f32_e32 v0, 0, v12
	v_add_f32_e32 v0, v0, v13
	;; [unrolled: 1-line block ×6, first 2 shown]
	v_mov_b32_e32 v1, 0x5000
	global_store_dword v17, v4, s[0:1] offset:1024
	global_store_dword v1, v0, s[0:1]
.LBB20_46:
	s_endpgm
	.section	.rodata,"a",@progbits
	.p2align	6, 0x0
	.amdhsa_kernel _Z23fp32_router_gemm_kernelIfLi128ELi21ELi256ELi3072EEvPfPKT_PKf
		.amdhsa_group_segment_fixed_size 336
		.amdhsa_private_segment_fixed_size 0
		.amdhsa_kernarg_size 24
		.amdhsa_user_sgpr_count 6
		.amdhsa_user_sgpr_private_segment_buffer 1
		.amdhsa_user_sgpr_dispatch_ptr 0
		.amdhsa_user_sgpr_queue_ptr 0
		.amdhsa_user_sgpr_kernarg_segment_ptr 1
		.amdhsa_user_sgpr_dispatch_id 0
		.amdhsa_user_sgpr_flat_scratch_init 0
		.amdhsa_user_sgpr_kernarg_preload_length 0
		.amdhsa_user_sgpr_kernarg_preload_offset 0
		.amdhsa_user_sgpr_private_segment_size 0
		.amdhsa_uses_dynamic_stack 0
		.amdhsa_system_sgpr_private_segment_wavefront_offset 0
		.amdhsa_system_sgpr_workgroup_id_x 1
		.amdhsa_system_sgpr_workgroup_id_y 0
		.amdhsa_system_sgpr_workgroup_id_z 0
		.amdhsa_system_sgpr_workgroup_info 0
		.amdhsa_system_vgpr_workitem_id 0
		.amdhsa_next_free_vgpr 52
		.amdhsa_next_free_sgpr 29
		.amdhsa_accum_offset 52
		.amdhsa_reserve_vcc 1
		.amdhsa_reserve_flat_scratch 0
		.amdhsa_float_round_mode_32 0
		.amdhsa_float_round_mode_16_64 0
		.amdhsa_float_denorm_mode_32 3
		.amdhsa_float_denorm_mode_16_64 3
		.amdhsa_dx10_clamp 1
		.amdhsa_ieee_mode 1
		.amdhsa_fp16_overflow 0
		.amdhsa_tg_split 0
		.amdhsa_exception_fp_ieee_invalid_op 0
		.amdhsa_exception_fp_denorm_src 0
		.amdhsa_exception_fp_ieee_div_zero 0
		.amdhsa_exception_fp_ieee_overflow 0
		.amdhsa_exception_fp_ieee_underflow 0
		.amdhsa_exception_fp_ieee_inexact 0
		.amdhsa_exception_int_div_zero 0
	.end_amdhsa_kernel
	.section	.text._Z23fp32_router_gemm_kernelIfLi128ELi21ELi256ELi3072EEvPfPKT_PKf,"axG",@progbits,_Z23fp32_router_gemm_kernelIfLi128ELi21ELi256ELi3072EEvPfPKT_PKf,comdat
.Lfunc_end20:
	.size	_Z23fp32_router_gemm_kernelIfLi128ELi21ELi256ELi3072EEvPfPKT_PKf, .Lfunc_end20-_Z23fp32_router_gemm_kernelIfLi128ELi21ELi256ELi3072EEvPfPKT_PKf
                                        ; -- End function
	.section	.AMDGPU.csdata,"",@progbits
; Kernel info:
; codeLenInByte = 4244
; NumSgprs: 33
; NumVgprs: 52
; NumAgprs: 0
; TotalNumVgprs: 52
; ScratchSize: 0
; MemoryBound: 0
; FloatMode: 240
; IeeeMode: 1
; LDSByteSize: 336 bytes/workgroup (compile time only)
; SGPRBlocks: 4
; VGPRBlocks: 6
; NumSGPRsForWavesPerEU: 33
; NumVGPRsForWavesPerEU: 52
; AccumOffset: 52
; Occupancy: 8
; WaveLimiterHint : 1
; COMPUTE_PGM_RSRC2:SCRATCH_EN: 0
; COMPUTE_PGM_RSRC2:USER_SGPR: 6
; COMPUTE_PGM_RSRC2:TRAP_HANDLER: 0
; COMPUTE_PGM_RSRC2:TGID_X_EN: 1
; COMPUTE_PGM_RSRC2:TGID_Y_EN: 0
; COMPUTE_PGM_RSRC2:TGID_Z_EN: 0
; COMPUTE_PGM_RSRC2:TIDIG_COMP_CNT: 0
; COMPUTE_PGM_RSRC3_GFX90A:ACCUM_OFFSET: 12
; COMPUTE_PGM_RSRC3_GFX90A:TG_SPLIT: 0
	.section	.text._Z23fp32_router_gemm_kernelIfLi128ELi22ELi256ELi3072EEvPfPKT_PKf,"axG",@progbits,_Z23fp32_router_gemm_kernelIfLi128ELi22ELi256ELi3072EEvPfPKT_PKf,comdat
	.protected	_Z23fp32_router_gemm_kernelIfLi128ELi22ELi256ELi3072EEvPfPKT_PKf ; -- Begin function _Z23fp32_router_gemm_kernelIfLi128ELi22ELi256ELi3072EEvPfPKT_PKf
	.globl	_Z23fp32_router_gemm_kernelIfLi128ELi22ELi256ELi3072EEvPfPKT_PKf
	.p2align	8
	.type	_Z23fp32_router_gemm_kernelIfLi128ELi22ELi256ELi3072EEvPfPKT_PKf,@function
_Z23fp32_router_gemm_kernelIfLi128ELi22ELi256ELi3072EEvPfPKT_PKf: ; @_Z23fp32_router_gemm_kernelIfLi128ELi22ELi256ELi3072EEvPfPKT_PKf
; %bb.0:
	s_load_dwordx4 s[0:3], s[4:5], 0x0
	s_load_dwordx2 s[8:9], s[4:5], 0x10
	s_mul_i32 s4, s6, 0xc00
	s_ashr_i32 s5, s4, 31
	s_lshl_b64 s[4:5], s[4:5], 2
	v_lshlrev_b32_e32 v2, 2, v0
	s_waitcnt lgkmcnt(0)
	s_add_u32 s4, s8, s4
	v_or_b32_e32 v1, 0x200, v2
	v_or_b32_e32 v4, 0x400, v2
	;; [unrolled: 1-line block ×5, first 2 shown]
	s_addc_u32 s5, s9, s5
	s_mov_b64 s[8:9], 0
	v_mov_b32_e32 v36, 0
	v_mov_b32_e32 v37, s3
	s_movk_i32 s7, 0x3000
	s_movk_i32 s10, 0x6000
	s_mov_b32 s11, 0x9000
	s_mov_b32 s12, 0xc000
	;; [unrolled: 1-line block ×19, first 2 shown]
	v_mov_b32_e32 v35, 0
	v_mov_b32_e32 v34, 0
	;; [unrolled: 1-line block ×21, first 2 shown]
.LBB21_1:                               ; =>This Inner Loop Header: Depth=1
	s_cmp_eq_u32 s8, 1
	s_cselect_b64 vcc, -1, 0
	s_cmp_eq_u32 s8, 2
	v_cndmask_b32_e32 v8, v2, v1, vcc
	s_cselect_b64 vcc, -1, 0
	s_cmp_eq_u32 s8, 3
	v_cndmask_b32_e32 v8, v8, v4, vcc
	;; [unrolled: 3-line block ×4, first 2 shown]
	s_cselect_b64 vcc, -1, 0
	v_cndmask_b32_e32 v8, v8, v5, vcc
	v_lshlrev_b32_e32 v50, 2, v8
	v_add_co_u32_e32 v51, vcc, s2, v50
	v_addc_co_u32_e32 v52, vcc, 0, v37, vcc
	v_add_co_u32_e32 v46, vcc, s7, v51
	v_addc_co_u32_e32 v47, vcc, 0, v52, vcc
	;; [unrolled: 2-line block ×3, first 2 shown]
	global_load_dwordx4 v[38:41], v[46:47], off
	global_load_dwordx4 v[42:45], v[48:49], off
	global_load_dwordx4 v[8:11], v50, s[4:5]
	global_load_dwordx4 v[12:15], v50, s[2:3]
	v_add_co_u32_e32 v46, vcc, s11, v51
	v_addc_co_u32_e32 v47, vcc, 0, v52, vcc
	v_add_co_u32_e32 v48, vcc, s12, v51
	v_addc_co_u32_e32 v49, vcc, 0, v52, vcc
	s_add_u32 s8, s8, 1
	s_addc_u32 s9, s9, 0
	s_cmp_eq_u32 s8, 6
	s_waitcnt vmcnt(1)
	v_fmac_f32_e32 v35, v38, v8
	v_fmac_f32_e32 v34, v42, v8
	;; [unrolled: 1-line block ×8, first 2 shown]
	global_load_dwordx4 v[38:41], v[46:47], off
	global_load_dwordx4 v[42:45], v[48:49], off
	v_add_co_u32_e32 v46, vcc, s13, v51
	v_addc_co_u32_e32 v47, vcc, 0, v52, vcc
	v_add_co_u32_e32 v48, vcc, s14, v51
	v_addc_co_u32_e32 v49, vcc, 0, v52, vcc
	s_waitcnt vmcnt(1)
	v_fmac_f32_e32 v33, v38, v8
	s_waitcnt vmcnt(0)
	v_fmac_f32_e32 v32, v42, v8
	v_fmac_f32_e32 v33, v39, v9
	v_fmac_f32_e32 v32, v43, v9
	v_fmac_f32_e32 v33, v40, v10
	v_fmac_f32_e32 v32, v44, v10
	v_fmac_f32_e32 v33, v41, v11
	v_fmac_f32_e32 v32, v45, v11
	global_load_dwordx4 v[38:41], v[46:47], off
	global_load_dwordx4 v[42:45], v[48:49], off
	v_add_co_u32_e32 v46, vcc, s15, v51
	v_addc_co_u32_e32 v47, vcc, 0, v52, vcc
	v_add_co_u32_e32 v48, vcc, s16, v51
	v_addc_co_u32_e32 v49, vcc, 0, v52, vcc
	s_waitcnt vmcnt(1)
	v_fmac_f32_e32 v31, v38, v8
	s_waitcnt vmcnt(0)
	v_fmac_f32_e32 v30, v42, v8
	v_fmac_f32_e32 v31, v39, v9
	v_fmac_f32_e32 v30, v43, v9
	v_fmac_f32_e32 v31, v40, v10
	v_fmac_f32_e32 v30, v44, v10
	v_fmac_f32_e32 v31, v41, v11
	v_fmac_f32_e32 v30, v45, v11
	;; [unrolled: 16-line block ×8, first 2 shown]
	global_load_dwordx4 v[38:41], v[46:47], off
	global_load_dwordx4 v[42:45], v[48:49], off
	s_waitcnt vmcnt(1)
	v_fmac_f32_e32 v17, v38, v8
	v_fmac_f32_e32 v17, v39, v9
	v_add_co_u32_e32 v38, vcc, s29, v51
	v_fmac_f32_e32 v17, v40, v10
	v_addc_co_u32_e32 v39, vcc, 0, v52, vcc
	v_fmac_f32_e32 v17, v41, v11
	global_load_dwordx4 v[38:41], v[38:39], off
	s_waitcnt vmcnt(1)
	v_fmac_f32_e32 v16, v42, v8
	v_fmac_f32_e32 v16, v43, v9
	;; [unrolled: 1-line block ×4, first 2 shown]
	s_waitcnt vmcnt(0)
	v_fmac_f32_e32 v7, v38, v8
	v_fmac_f32_e32 v7, v39, v9
	v_pk_mul_f32 v[8:9], v[12:13], v[8:9]
	v_fmac_f32_e32 v7, v40, v10
	v_add_f32_e32 v8, v8, v36
	v_fmac_f32_e32 v7, v41, v11
	v_pk_mul_f32 v[10:11], v[14:15], v[10:11]
	v_add_f32_e32 v8, v9, v8
	v_add_f32_e32 v8, v10, v8
	;; [unrolled: 1-line block ×3, first 2 shown]
	s_cbranch_scc0 .LBB21_1
; %bb.2:
	v_mbcnt_lo_u32_b32 v1, -1, 0
	v_mbcnt_hi_u32_b32 v5, -1, v1
	v_and_b32_e32 v2, 64, v5
	v_xor_b32_e32 v1, 16, v5
	v_add_u32_e32 v6, 64, v2
	v_cmp_lt_i32_e32 vcc, v1, v6
	v_cndmask_b32_e32 v1, v5, v1, vcc
	v_lshlrev_b32_e32 v1, 2, v1
	ds_bpermute_b32 v3, v1, v36
	v_xor_b32_e32 v2, 8, v5
	v_cmp_lt_i32_e32 vcc, v2, v6
	v_cndmask_b32_e32 v2, v5, v2, vcc
	v_lshlrev_b32_e32 v2, 2, v2
	s_waitcnt lgkmcnt(0)
	v_add_f32_e32 v4, v36, v3
	ds_bpermute_b32 v8, v2, v4
	v_xor_b32_e32 v3, 4, v5
	v_cmp_lt_i32_e32 vcc, v3, v6
	v_cndmask_b32_e32 v3, v5, v3, vcc
	v_lshlrev_b32_e32 v3, 2, v3
	s_waitcnt lgkmcnt(0)
	v_add_f32_e32 v8, v4, v8
	;; [unrolled: 7-line block ×4, first 2 shown]
	ds_bpermute_b32 v9, v6, v8
	v_lshrrev_b32_e32 v5, 5, v0
	v_and_b32_e32 v10, 31, v0
	v_cmp_eq_u32_e32 vcc, 0, v10
	v_lshlrev_b32_e32 v5, 2, v5
	s_and_saveexec_b64 s[2:3], vcc
	s_cbranch_execz .LBB21_4
; %bb.3:
	s_waitcnt lgkmcnt(0)
	v_add_f32_e32 v8, v8, v9
	ds_write_b32 v5, v8
.LBB21_4:
	s_or_b64 exec, exec, s[2:3]
	ds_bpermute_b32 v8, v1, v35
	s_waitcnt lgkmcnt(0)
	v_add_f32_e32 v8, v35, v8
	ds_bpermute_b32 v9, v2, v8
	s_waitcnt lgkmcnt(0)
	v_add_f32_e32 v8, v8, v9
	ds_bpermute_b32 v9, v3, v8
	s_waitcnt lgkmcnt(0)
	v_add_f32_e32 v8, v8, v9
	ds_bpermute_b32 v9, v4, v8
	s_waitcnt lgkmcnt(0)
	v_add_f32_e32 v8, v8, v9
	ds_bpermute_b32 v9, v6, v8
	s_and_saveexec_b64 s[2:3], vcc
	s_cbranch_execz .LBB21_6
; %bb.5:
	s_waitcnt lgkmcnt(0)
	v_add_f32_e32 v8, v8, v9
	ds_write_b32 v5, v8 offset:16
.LBB21_6:
	s_or_b64 exec, exec, s[2:3]
	ds_bpermute_b32 v8, v1, v34
	s_waitcnt lgkmcnt(0)
	v_add_f32_e32 v8, v34, v8
	ds_bpermute_b32 v9, v2, v8
	s_waitcnt lgkmcnt(0)
	v_add_f32_e32 v8, v8, v9
	ds_bpermute_b32 v9, v3, v8
	s_waitcnt lgkmcnt(0)
	v_add_f32_e32 v8, v8, v9
	ds_bpermute_b32 v9, v4, v8
	s_waitcnt lgkmcnt(0)
	v_add_f32_e32 v8, v8, v9
	ds_bpermute_b32 v9, v6, v8
	s_and_saveexec_b64 s[2:3], vcc
	s_cbranch_execz .LBB21_8
; %bb.7:
	s_waitcnt lgkmcnt(0)
	v_add_f32_e32 v8, v8, v9
	ds_write_b32 v5, v8 offset:32
.LBB21_8:
	;; [unrolled: 21-line block ×21, first 2 shown]
	s_or_b64 exec, exec, s[2:3]
	v_cmp_eq_u32_e32 vcc, 0, v0
	s_waitcnt lgkmcnt(0)
	s_barrier
	s_and_saveexec_b64 s[2:3], vcc
	s_cbranch_execz .LBB21_48
; %bb.47:
	v_mov_b32_e32 v16, 0
	ds_read_b128 v[0:3], v16
	s_ashr_i32 s7, s6, 31
	ds_read_b128 v[4:7], v16 offset:16
	ds_read_b128 v[8:11], v16 offset:32
	;; [unrolled: 1-line block ×3, first 2 shown]
	s_lshl_b64 s[2:3], s[6:7], 2
	s_add_u32 s0, s0, s2
	s_waitcnt lgkmcnt(3)
	v_add_f32_e32 v0, 0, v0
	v_add_f32_e32 v0, v0, v1
	;; [unrolled: 1-line block ×4, first 2 shown]
	s_addc_u32 s1, s1, s3
	global_store_dword v16, v0, s[0:1]
	s_waitcnt lgkmcnt(2)
	v_add_f32_e32 v0, 0, v4
	v_add_f32_e32 v0, v0, v5
	;; [unrolled: 1-line block ×4, first 2 shown]
	global_store_dword v16, v0, s[0:1] offset:1024
	s_waitcnt lgkmcnt(1)
	v_add_f32_e32 v0, 0, v8
	v_add_f32_e32 v0, v0, v9
	;; [unrolled: 1-line block ×4, first 2 shown]
	global_store_dword v16, v0, s[0:1] offset:2048
	s_waitcnt lgkmcnt(0)
	v_add_f32_e32 v0, 0, v12
	v_add_f32_e32 v4, v0, v13
	ds_read_b128 v[0:3], v16 offset:64
	v_add_f32_e32 v4, v4, v14
	v_add_f32_e32 v4, v4, v15
	global_store_dword v16, v4, s[0:1] offset:3072
	ds_read_b128 v[4:7], v16 offset:80
	s_waitcnt lgkmcnt(1)
	v_add_f32_e32 v0, 0, v0
	v_add_f32_e32 v0, v0, v1
	;; [unrolled: 1-line block ×4, first 2 shown]
	v_mov_b32_e32 v8, 0x1000
	global_store_dword v8, v0, s[0:1]
	s_waitcnt lgkmcnt(0)
	v_add_f32_e32 v0, 0, v4
	v_add_f32_e32 v4, v0, v5
	ds_read_b128 v[0:3], v16 offset:96
	v_add_f32_e32 v4, v4, v6
	v_add_f32_e32 v4, v4, v7
	global_store_dword v8, v4, s[0:1] offset:1024
	ds_read_b128 v[4:7], v16 offset:112
	s_waitcnt lgkmcnt(1)
	v_add_f32_e32 v0, 0, v0
	v_add_f32_e32 v0, v0, v1
	;; [unrolled: 1-line block ×4, first 2 shown]
	global_store_dword v8, v0, s[0:1] offset:2048
	s_waitcnt lgkmcnt(0)
	v_add_f32_e32 v0, 0, v4
	v_add_f32_e32 v4, v0, v5
	ds_read_b128 v[0:3], v16 offset:128
	v_add_f32_e32 v4, v4, v6
	v_add_f32_e32 v4, v4, v7
	global_store_dword v8, v4, s[0:1] offset:3072
	ds_read_b128 v[4:7], v16 offset:144
	s_waitcnt lgkmcnt(1)
	v_add_f32_e32 v0, 0, v0
	v_add_f32_e32 v0, v0, v1
	;; [unrolled: 1-line block ×4, first 2 shown]
	v_mov_b32_e32 v12, 0x2000
	global_store_dword v12, v0, s[0:1]
	ds_read_b128 v[0:3], v16 offset:160
	ds_read_b128 v[8:11], v16 offset:176
	s_waitcnt lgkmcnt(2)
	v_add_f32_e32 v4, 0, v4
	v_add_f32_e32 v4, v4, v5
	;; [unrolled: 1-line block ×3, first 2 shown]
	s_waitcnt lgkmcnt(1)
	v_add_f32_e32 v0, 0, v0
	v_add_f32_e32 v0, v0, v1
	;; [unrolled: 1-line block ×5, first 2 shown]
	global_store_dword v12, v0, s[0:1] offset:2048
	s_waitcnt lgkmcnt(0)
	v_add_f32_e32 v0, 0, v8
	global_store_dword v12, v4, s[0:1] offset:1024
	v_add_f32_e32 v4, v0, v9
	ds_read_b128 v[0:3], v16 offset:192
	v_add_f32_e32 v4, v4, v10
	v_add_f32_e32 v4, v4, v11
	global_store_dword v12, v4, s[0:1] offset:3072
	ds_read_b128 v[4:7], v16 offset:208
	s_waitcnt lgkmcnt(1)
	v_add_f32_e32 v0, 0, v0
	v_add_f32_e32 v0, v0, v1
	;; [unrolled: 1-line block ×4, first 2 shown]
	v_mov_b32_e32 v8, 0x3000
	global_store_dword v8, v0, s[0:1]
	s_waitcnt lgkmcnt(0)
	v_add_f32_e32 v0, 0, v4
	v_add_f32_e32 v4, v0, v5
	ds_read_b128 v[0:3], v16 offset:224
	v_add_f32_e32 v4, v4, v6
	v_add_f32_e32 v4, v4, v7
	global_store_dword v8, v4, s[0:1] offset:1024
	ds_read_b128 v[4:7], v16 offset:240
	s_waitcnt lgkmcnt(1)
	v_add_f32_e32 v0, 0, v0
	v_add_f32_e32 v0, v0, v1
	;; [unrolled: 1-line block ×4, first 2 shown]
	global_store_dword v8, v0, s[0:1] offset:2048
	s_waitcnt lgkmcnt(0)
	v_add_f32_e32 v0, 0, v4
	v_add_f32_e32 v4, v0, v5
	ds_read_b128 v[0:3], v16 offset:256
	v_add_f32_e32 v4, v4, v6
	v_add_f32_e32 v4, v4, v7
	global_store_dword v8, v4, s[0:1] offset:3072
	ds_read_b128 v[4:7], v16 offset:272
	s_waitcnt lgkmcnt(1)
	v_add_f32_e32 v0, 0, v0
	v_add_f32_e32 v0, v0, v1
	;; [unrolled: 1-line block ×4, first 2 shown]
	v_mov_b32_e32 v12, 0x4000
	global_store_dword v12, v0, s[0:1]
	ds_read_b128 v[0:3], v16 offset:288
	ds_read_b128 v[8:11], v16 offset:304
	s_waitcnt lgkmcnt(2)
	v_add_f32_e32 v4, 0, v4
	v_add_f32_e32 v4, v4, v5
	;; [unrolled: 1-line block ×3, first 2 shown]
	s_waitcnt lgkmcnt(1)
	v_add_f32_e32 v0, 0, v0
	v_add_f32_e32 v0, v0, v1
	;; [unrolled: 1-line block ×5, first 2 shown]
	global_store_dword v12, v0, s[0:1] offset:2048
	s_waitcnt lgkmcnt(0)
	v_add_f32_e32 v0, 0, v8
	global_store_dword v12, v4, s[0:1] offset:1024
	v_add_f32_e32 v4, v0, v9
	ds_read_b128 v[0:3], v16 offset:320
	v_add_f32_e32 v4, v4, v10
	v_add_f32_e32 v4, v4, v11
	global_store_dword v12, v4, s[0:1] offset:3072
	ds_read_b128 v[4:7], v16 offset:336
	s_waitcnt lgkmcnt(1)
	v_add_f32_e32 v0, 0, v0
	v_add_f32_e32 v0, v0, v1
	;; [unrolled: 1-line block ×4, first 2 shown]
	v_mov_b32_e32 v1, 0x5000
	global_store_dword v1, v0, s[0:1]
	s_waitcnt lgkmcnt(0)
	v_add_f32_e32 v0, 0, v4
	v_add_f32_e32 v0, v0, v5
	;; [unrolled: 1-line block ×4, first 2 shown]
	global_store_dword v1, v0, s[0:1] offset:1024
.LBB21_48:
	s_endpgm
	.section	.rodata,"a",@progbits
	.p2align	6, 0x0
	.amdhsa_kernel _Z23fp32_router_gemm_kernelIfLi128ELi22ELi256ELi3072EEvPfPKT_PKf
		.amdhsa_group_segment_fixed_size 352
		.amdhsa_private_segment_fixed_size 0
		.amdhsa_kernarg_size 24
		.amdhsa_user_sgpr_count 6
		.amdhsa_user_sgpr_private_segment_buffer 1
		.amdhsa_user_sgpr_dispatch_ptr 0
		.amdhsa_user_sgpr_queue_ptr 0
		.amdhsa_user_sgpr_kernarg_segment_ptr 1
		.amdhsa_user_sgpr_dispatch_id 0
		.amdhsa_user_sgpr_flat_scratch_init 0
		.amdhsa_user_sgpr_kernarg_preload_length 0
		.amdhsa_user_sgpr_kernarg_preload_offset 0
		.amdhsa_user_sgpr_private_segment_size 0
		.amdhsa_uses_dynamic_stack 0
		.amdhsa_system_sgpr_private_segment_wavefront_offset 0
		.amdhsa_system_sgpr_workgroup_id_x 1
		.amdhsa_system_sgpr_workgroup_id_y 0
		.amdhsa_system_sgpr_workgroup_id_z 0
		.amdhsa_system_sgpr_workgroup_info 0
		.amdhsa_system_vgpr_workitem_id 0
		.amdhsa_next_free_vgpr 53
		.amdhsa_next_free_sgpr 30
		.amdhsa_accum_offset 56
		.amdhsa_reserve_vcc 1
		.amdhsa_reserve_flat_scratch 0
		.amdhsa_float_round_mode_32 0
		.amdhsa_float_round_mode_16_64 0
		.amdhsa_float_denorm_mode_32 3
		.amdhsa_float_denorm_mode_16_64 3
		.amdhsa_dx10_clamp 1
		.amdhsa_ieee_mode 1
		.amdhsa_fp16_overflow 0
		.amdhsa_tg_split 0
		.amdhsa_exception_fp_ieee_invalid_op 0
		.amdhsa_exception_fp_denorm_src 0
		.amdhsa_exception_fp_ieee_div_zero 0
		.amdhsa_exception_fp_ieee_overflow 0
		.amdhsa_exception_fp_ieee_underflow 0
		.amdhsa_exception_fp_ieee_inexact 0
		.amdhsa_exception_int_div_zero 0
	.end_amdhsa_kernel
	.section	.text._Z23fp32_router_gemm_kernelIfLi128ELi22ELi256ELi3072EEvPfPKT_PKf,"axG",@progbits,_Z23fp32_router_gemm_kernelIfLi128ELi22ELi256ELi3072EEvPfPKT_PKf,comdat
.Lfunc_end21:
	.size	_Z23fp32_router_gemm_kernelIfLi128ELi22ELi256ELi3072EEvPfPKT_PKf, .Lfunc_end21-_Z23fp32_router_gemm_kernelIfLi128ELi22ELi256ELi3072EEvPfPKT_PKf
                                        ; -- End function
	.section	.AMDGPU.csdata,"",@progbits
; Kernel info:
; codeLenInByte = 4428
; NumSgprs: 34
; NumVgprs: 53
; NumAgprs: 0
; TotalNumVgprs: 53
; ScratchSize: 0
; MemoryBound: 0
; FloatMode: 240
; IeeeMode: 1
; LDSByteSize: 352 bytes/workgroup (compile time only)
; SGPRBlocks: 4
; VGPRBlocks: 6
; NumSGPRsForWavesPerEU: 34
; NumVGPRsForWavesPerEU: 53
; AccumOffset: 56
; Occupancy: 8
; WaveLimiterHint : 1
; COMPUTE_PGM_RSRC2:SCRATCH_EN: 0
; COMPUTE_PGM_RSRC2:USER_SGPR: 6
; COMPUTE_PGM_RSRC2:TRAP_HANDLER: 0
; COMPUTE_PGM_RSRC2:TGID_X_EN: 1
; COMPUTE_PGM_RSRC2:TGID_Y_EN: 0
; COMPUTE_PGM_RSRC2:TGID_Z_EN: 0
; COMPUTE_PGM_RSRC2:TIDIG_COMP_CNT: 0
; COMPUTE_PGM_RSRC3_GFX90A:ACCUM_OFFSET: 13
; COMPUTE_PGM_RSRC3_GFX90A:TG_SPLIT: 0
	.section	.text._Z23fp32_router_gemm_kernelIfLi128ELi23ELi256ELi3072EEvPfPKT_PKf,"axG",@progbits,_Z23fp32_router_gemm_kernelIfLi128ELi23ELi256ELi3072EEvPfPKT_PKf,comdat
	.protected	_Z23fp32_router_gemm_kernelIfLi128ELi23ELi256ELi3072EEvPfPKT_PKf ; -- Begin function _Z23fp32_router_gemm_kernelIfLi128ELi23ELi256ELi3072EEvPfPKT_PKf
	.globl	_Z23fp32_router_gemm_kernelIfLi128ELi23ELi256ELi3072EEvPfPKT_PKf
	.p2align	8
	.type	_Z23fp32_router_gemm_kernelIfLi128ELi23ELi256ELi3072EEvPfPKT_PKf,@function
_Z23fp32_router_gemm_kernelIfLi128ELi23ELi256ELi3072EEvPfPKT_PKf: ; @_Z23fp32_router_gemm_kernelIfLi128ELi23ELi256ELi3072EEvPfPKT_PKf
; %bb.0:
	s_load_dwordx4 s[0:3], s[4:5], 0x0
	s_load_dwordx2 s[8:9], s[4:5], 0x10
	s_mul_i32 s4, s6, 0xc00
	s_ashr_i32 s5, s4, 31
	s_lshl_b64 s[4:5], s[4:5], 2
	v_lshlrev_b32_e32 v2, 2, v0
	s_waitcnt lgkmcnt(0)
	s_add_u32 s4, s8, s4
	v_or_b32_e32 v1, 0x200, v2
	v_or_b32_e32 v4, 0x400, v2
	;; [unrolled: 1-line block ×5, first 2 shown]
	s_addc_u32 s5, s9, s5
	s_mov_b64 s[8:9], 0
	v_mov_b32_e32 v37, 0
	v_mov_b32_e32 v38, s3
	s_movk_i32 s7, 0x3000
	s_movk_i32 s10, 0x6000
	s_mov_b32 s11, 0x9000
	s_mov_b32 s12, 0xc000
	;; [unrolled: 1-line block ×20, first 2 shown]
	v_mov_b32_e32 v36, 0
	v_mov_b32_e32 v35, 0
	;; [unrolled: 1-line block ×22, first 2 shown]
.LBB22_1:                               ; =>This Inner Loop Header: Depth=1
	s_cmp_eq_u32 s8, 1
	s_cselect_b64 vcc, -1, 0
	s_cmp_eq_u32 s8, 2
	v_cndmask_b32_e32 v8, v2, v1, vcc
	s_cselect_b64 vcc, -1, 0
	s_cmp_eq_u32 s8, 3
	v_cndmask_b32_e32 v8, v8, v4, vcc
	s_cselect_b64 vcc, -1, 0
	s_cmp_eq_u32 s8, 4
	v_cndmask_b32_e32 v8, v8, v3, vcc
	s_cselect_b64 vcc, -1, 0
	s_cmp_eq_u32 s8, 5
	v_cndmask_b32_e32 v8, v8, v6, vcc
	s_cselect_b64 vcc, -1, 0
	v_cndmask_b32_e32 v8, v8, v5, vcc
	v_lshlrev_b32_e32 v39, 2, v8
	v_add_co_u32_e32 v52, vcc, s2, v39
	v_addc_co_u32_e32 v53, vcc, 0, v38, vcc
	v_add_co_u32_e32 v48, vcc, s7, v52
	v_addc_co_u32_e32 v49, vcc, 0, v53, vcc
	;; [unrolled: 2-line block ×3, first 2 shown]
	global_load_dwordx4 v[40:43], v[48:49], off
	global_load_dwordx4 v[44:47], v[50:51], off
	global_load_dwordx4 v[8:11], v39, s[4:5]
	global_load_dwordx4 v[12:15], v39, s[2:3]
	v_add_co_u32_e32 v48, vcc, s11, v52
	v_addc_co_u32_e32 v49, vcc, 0, v53, vcc
	v_add_co_u32_e32 v50, vcc, s12, v52
	v_addc_co_u32_e32 v51, vcc, 0, v53, vcc
	s_add_u32 s8, s8, 1
	s_addc_u32 s9, s9, 0
	s_cmp_eq_u32 s8, 6
	s_waitcnt vmcnt(1)
	v_fmac_f32_e32 v36, v40, v8
	v_fmac_f32_e32 v35, v44, v8
	v_fmac_f32_e32 v36, v41, v9
	v_fmac_f32_e32 v35, v45, v9
	v_fmac_f32_e32 v36, v42, v10
	v_fmac_f32_e32 v35, v46, v10
	v_fmac_f32_e32 v36, v43, v11
	v_fmac_f32_e32 v35, v47, v11
	global_load_dwordx4 v[40:43], v[48:49], off
	global_load_dwordx4 v[44:47], v[50:51], off
	v_add_co_u32_e32 v48, vcc, s13, v52
	v_addc_co_u32_e32 v49, vcc, 0, v53, vcc
	v_add_co_u32_e32 v50, vcc, s14, v52
	v_addc_co_u32_e32 v51, vcc, 0, v53, vcc
	s_waitcnt vmcnt(1)
	v_fmac_f32_e32 v34, v40, v8
	s_waitcnt vmcnt(0)
	v_fmac_f32_e32 v33, v44, v8
	v_fmac_f32_e32 v34, v41, v9
	v_fmac_f32_e32 v33, v45, v9
	v_fmac_f32_e32 v34, v42, v10
	v_fmac_f32_e32 v33, v46, v10
	v_fmac_f32_e32 v34, v43, v11
	v_fmac_f32_e32 v33, v47, v11
	global_load_dwordx4 v[40:43], v[48:49], off
	global_load_dwordx4 v[44:47], v[50:51], off
	v_add_co_u32_e32 v48, vcc, s15, v52
	v_addc_co_u32_e32 v49, vcc, 0, v53, vcc
	v_add_co_u32_e32 v50, vcc, s16, v52
	v_addc_co_u32_e32 v51, vcc, 0, v53, vcc
	s_waitcnt vmcnt(1)
	v_fmac_f32_e32 v32, v40, v8
	s_waitcnt vmcnt(0)
	v_fmac_f32_e32 v31, v44, v8
	v_fmac_f32_e32 v32, v41, v9
	v_fmac_f32_e32 v31, v45, v9
	v_fmac_f32_e32 v32, v42, v10
	v_fmac_f32_e32 v31, v46, v10
	v_fmac_f32_e32 v32, v43, v11
	v_fmac_f32_e32 v31, v47, v11
	;; [unrolled: 16-line block ×9, first 2 shown]
	global_load_dwordx4 v[40:43], v[48:49], off
	global_load_dwordx4 v[44:47], v[50:51], off
	s_waitcnt vmcnt(1)
	v_fmac_f32_e32 v16, v40, v8
	s_waitcnt vmcnt(0)
	v_fmac_f32_e32 v7, v44, v8
	v_fmac_f32_e32 v16, v41, v9
	;; [unrolled: 1-line block ×3, first 2 shown]
	v_pk_mul_f32 v[8:9], v[12:13], v[8:9]
	v_fmac_f32_e32 v16, v42, v10
	v_fmac_f32_e32 v7, v46, v10
	v_add_f32_e32 v8, v8, v37
	v_fmac_f32_e32 v16, v43, v11
	v_fmac_f32_e32 v7, v47, v11
	v_pk_mul_f32 v[10:11], v[14:15], v[10:11]
	v_add_f32_e32 v8, v9, v8
	v_add_f32_e32 v8, v10, v8
	;; [unrolled: 1-line block ×3, first 2 shown]
	s_cbranch_scc0 .LBB22_1
; %bb.2:
	v_mbcnt_lo_u32_b32 v1, -1, 0
	v_mbcnt_hi_u32_b32 v5, -1, v1
	v_and_b32_e32 v2, 64, v5
	v_xor_b32_e32 v1, 16, v5
	v_add_u32_e32 v6, 64, v2
	v_cmp_lt_i32_e32 vcc, v1, v6
	v_cndmask_b32_e32 v1, v5, v1, vcc
	v_lshlrev_b32_e32 v1, 2, v1
	ds_bpermute_b32 v3, v1, v37
	v_xor_b32_e32 v2, 8, v5
	v_cmp_lt_i32_e32 vcc, v2, v6
	v_cndmask_b32_e32 v2, v5, v2, vcc
	v_lshlrev_b32_e32 v2, 2, v2
	s_waitcnt lgkmcnt(0)
	v_add_f32_e32 v4, v37, v3
	ds_bpermute_b32 v8, v2, v4
	v_xor_b32_e32 v3, 4, v5
	v_cmp_lt_i32_e32 vcc, v3, v6
	v_cndmask_b32_e32 v3, v5, v3, vcc
	v_lshlrev_b32_e32 v3, 2, v3
	s_waitcnt lgkmcnt(0)
	v_add_f32_e32 v8, v4, v8
	;; [unrolled: 7-line block ×4, first 2 shown]
	ds_bpermute_b32 v9, v6, v8
	v_lshrrev_b32_e32 v5, 5, v0
	v_and_b32_e32 v10, 31, v0
	v_cmp_eq_u32_e32 vcc, 0, v10
	v_lshlrev_b32_e32 v5, 2, v5
	s_and_saveexec_b64 s[2:3], vcc
	s_cbranch_execz .LBB22_4
; %bb.3:
	s_waitcnt lgkmcnt(0)
	v_add_f32_e32 v8, v8, v9
	ds_write_b32 v5, v8
.LBB22_4:
	s_or_b64 exec, exec, s[2:3]
	ds_bpermute_b32 v8, v1, v36
	s_waitcnt lgkmcnt(0)
	v_add_f32_e32 v8, v36, v8
	ds_bpermute_b32 v9, v2, v8
	s_waitcnt lgkmcnt(0)
	v_add_f32_e32 v8, v8, v9
	ds_bpermute_b32 v9, v3, v8
	s_waitcnt lgkmcnt(0)
	v_add_f32_e32 v8, v8, v9
	ds_bpermute_b32 v9, v4, v8
	s_waitcnt lgkmcnt(0)
	v_add_f32_e32 v8, v8, v9
	ds_bpermute_b32 v9, v6, v8
	s_and_saveexec_b64 s[2:3], vcc
	s_cbranch_execz .LBB22_6
; %bb.5:
	s_waitcnt lgkmcnt(0)
	v_add_f32_e32 v8, v8, v9
	ds_write_b32 v5, v8 offset:16
.LBB22_6:
	s_or_b64 exec, exec, s[2:3]
	ds_bpermute_b32 v8, v1, v35
	s_waitcnt lgkmcnt(0)
	v_add_f32_e32 v8, v35, v8
	ds_bpermute_b32 v9, v2, v8
	s_waitcnt lgkmcnt(0)
	v_add_f32_e32 v8, v8, v9
	ds_bpermute_b32 v9, v3, v8
	s_waitcnt lgkmcnt(0)
	v_add_f32_e32 v8, v8, v9
	ds_bpermute_b32 v9, v4, v8
	s_waitcnt lgkmcnt(0)
	v_add_f32_e32 v8, v8, v9
	ds_bpermute_b32 v9, v6, v8
	s_and_saveexec_b64 s[2:3], vcc
	s_cbranch_execz .LBB22_8
; %bb.7:
	s_waitcnt lgkmcnt(0)
	v_add_f32_e32 v8, v8, v9
	ds_write_b32 v5, v8 offset:32
.LBB22_8:
	;; [unrolled: 21-line block ×22, first 2 shown]
	s_or_b64 exec, exec, s[2:3]
	v_cmp_eq_u32_e32 vcc, 0, v0
	s_waitcnt lgkmcnt(0)
	s_barrier
	s_and_saveexec_b64 s[2:3], vcc
	s_cbranch_execz .LBB22_50
; %bb.49:
	v_mov_b32_e32 v16, 0
	ds_read_b128 v[0:3], v16
	s_ashr_i32 s7, s6, 31
	ds_read_b128 v[4:7], v16 offset:16
	ds_read_b128 v[8:11], v16 offset:32
	;; [unrolled: 1-line block ×3, first 2 shown]
	s_lshl_b64 s[2:3], s[6:7], 2
	s_add_u32 s0, s0, s2
	s_waitcnt lgkmcnt(3)
	v_add_f32_e32 v0, 0, v0
	v_add_f32_e32 v0, v0, v1
	;; [unrolled: 1-line block ×4, first 2 shown]
	s_addc_u32 s1, s1, s3
	global_store_dword v16, v0, s[0:1]
	s_waitcnt lgkmcnt(2)
	v_add_f32_e32 v0, 0, v4
	v_add_f32_e32 v0, v0, v5
	;; [unrolled: 1-line block ×4, first 2 shown]
	global_store_dword v16, v0, s[0:1] offset:1024
	s_waitcnt lgkmcnt(1)
	v_add_f32_e32 v0, 0, v8
	v_add_f32_e32 v0, v0, v9
	;; [unrolled: 1-line block ×4, first 2 shown]
	global_store_dword v16, v0, s[0:1] offset:2048
	s_waitcnt lgkmcnt(0)
	v_add_f32_e32 v0, 0, v12
	v_add_f32_e32 v4, v0, v13
	ds_read_b128 v[0:3], v16 offset:64
	v_add_f32_e32 v4, v4, v14
	v_add_f32_e32 v4, v4, v15
	global_store_dword v16, v4, s[0:1] offset:3072
	ds_read_b128 v[4:7], v16 offset:80
	s_waitcnt lgkmcnt(1)
	v_add_f32_e32 v0, 0, v0
	v_add_f32_e32 v0, v0, v1
	;; [unrolled: 1-line block ×4, first 2 shown]
	v_mov_b32_e32 v8, 0x1000
	global_store_dword v8, v0, s[0:1]
	s_waitcnt lgkmcnt(0)
	v_add_f32_e32 v0, 0, v4
	v_add_f32_e32 v4, v0, v5
	ds_read_b128 v[0:3], v16 offset:96
	v_add_f32_e32 v4, v4, v6
	v_add_f32_e32 v4, v4, v7
	global_store_dword v8, v4, s[0:1] offset:1024
	ds_read_b128 v[4:7], v16 offset:112
	s_waitcnt lgkmcnt(1)
	v_add_f32_e32 v0, 0, v0
	v_add_f32_e32 v0, v0, v1
	;; [unrolled: 1-line block ×4, first 2 shown]
	global_store_dword v8, v0, s[0:1] offset:2048
	s_waitcnt lgkmcnt(0)
	v_add_f32_e32 v0, 0, v4
	v_add_f32_e32 v4, v0, v5
	ds_read_b128 v[0:3], v16 offset:128
	v_add_f32_e32 v4, v4, v6
	v_add_f32_e32 v4, v4, v7
	global_store_dword v8, v4, s[0:1] offset:3072
	ds_read_b128 v[4:7], v16 offset:144
	s_waitcnt lgkmcnt(1)
	v_add_f32_e32 v0, 0, v0
	v_add_f32_e32 v0, v0, v1
	;; [unrolled: 1-line block ×4, first 2 shown]
	v_mov_b32_e32 v12, 0x2000
	global_store_dword v12, v0, s[0:1]
	ds_read_b128 v[0:3], v16 offset:160
	ds_read_b128 v[8:11], v16 offset:176
	s_waitcnt lgkmcnt(2)
	v_add_f32_e32 v4, 0, v4
	v_add_f32_e32 v4, v4, v5
	;; [unrolled: 1-line block ×3, first 2 shown]
	s_waitcnt lgkmcnt(1)
	v_add_f32_e32 v0, 0, v0
	v_add_f32_e32 v0, v0, v1
	;; [unrolled: 1-line block ×5, first 2 shown]
	global_store_dword v12, v0, s[0:1] offset:2048
	s_waitcnt lgkmcnt(0)
	v_add_f32_e32 v0, 0, v8
	global_store_dword v12, v4, s[0:1] offset:1024
	v_add_f32_e32 v4, v0, v9
	ds_read_b128 v[0:3], v16 offset:192
	v_add_f32_e32 v4, v4, v10
	v_add_f32_e32 v4, v4, v11
	global_store_dword v12, v4, s[0:1] offset:3072
	ds_read_b128 v[4:7], v16 offset:208
	s_waitcnt lgkmcnt(1)
	v_add_f32_e32 v0, 0, v0
	v_add_f32_e32 v0, v0, v1
	;; [unrolled: 1-line block ×4, first 2 shown]
	v_mov_b32_e32 v8, 0x3000
	global_store_dword v8, v0, s[0:1]
	s_waitcnt lgkmcnt(0)
	v_add_f32_e32 v0, 0, v4
	v_add_f32_e32 v4, v0, v5
	ds_read_b128 v[0:3], v16 offset:224
	v_add_f32_e32 v4, v4, v6
	v_add_f32_e32 v4, v4, v7
	global_store_dword v8, v4, s[0:1] offset:1024
	ds_read_b128 v[4:7], v16 offset:240
	s_waitcnt lgkmcnt(1)
	v_add_f32_e32 v0, 0, v0
	v_add_f32_e32 v0, v0, v1
	;; [unrolled: 1-line block ×4, first 2 shown]
	global_store_dword v8, v0, s[0:1] offset:2048
	s_waitcnt lgkmcnt(0)
	v_add_f32_e32 v0, 0, v4
	v_add_f32_e32 v4, v0, v5
	ds_read_b128 v[0:3], v16 offset:256
	v_add_f32_e32 v4, v4, v6
	v_add_f32_e32 v4, v4, v7
	global_store_dword v8, v4, s[0:1] offset:3072
	ds_read_b128 v[4:7], v16 offset:272
	s_waitcnt lgkmcnt(1)
	v_add_f32_e32 v0, 0, v0
	v_add_f32_e32 v0, v0, v1
	;; [unrolled: 1-line block ×4, first 2 shown]
	v_mov_b32_e32 v12, 0x4000
	global_store_dword v12, v0, s[0:1]
	ds_read_b128 v[0:3], v16 offset:288
	ds_read_b128 v[8:11], v16 offset:304
	s_waitcnt lgkmcnt(2)
	v_add_f32_e32 v4, 0, v4
	v_add_f32_e32 v4, v4, v5
	;; [unrolled: 1-line block ×3, first 2 shown]
	s_waitcnt lgkmcnt(1)
	v_add_f32_e32 v0, 0, v0
	v_add_f32_e32 v0, v0, v1
	;; [unrolled: 1-line block ×5, first 2 shown]
	global_store_dword v12, v0, s[0:1] offset:2048
	s_waitcnt lgkmcnt(0)
	v_add_f32_e32 v0, 0, v8
	global_store_dword v12, v4, s[0:1] offset:1024
	v_add_f32_e32 v4, v0, v9
	ds_read_b128 v[0:3], v16 offset:320
	v_add_f32_e32 v4, v4, v10
	v_add_f32_e32 v4, v4, v11
	global_store_dword v12, v4, s[0:1] offset:3072
	ds_read_b128 v[4:7], v16 offset:336
	s_waitcnt lgkmcnt(1)
	v_add_f32_e32 v0, 0, v0
	v_add_f32_e32 v0, v0, v1
	;; [unrolled: 1-line block ×4, first 2 shown]
	v_mov_b32_e32 v8, 0x5000
	global_store_dword v8, v0, s[0:1]
	ds_read_b128 v[0:3], v16 offset:352
	s_waitcnt lgkmcnt(1)
	v_add_f32_e32 v4, 0, v4
	v_add_f32_e32 v4, v4, v5
	;; [unrolled: 1-line block ×4, first 2 shown]
	s_waitcnt lgkmcnt(0)
	v_add_f32_e32 v0, 0, v0
	v_add_f32_e32 v0, v0, v1
	;; [unrolled: 1-line block ×4, first 2 shown]
	global_store_dword v8, v4, s[0:1] offset:1024
	global_store_dword v8, v0, s[0:1] offset:2048
.LBB22_50:
	s_endpgm
	.section	.rodata,"a",@progbits
	.p2align	6, 0x0
	.amdhsa_kernel _Z23fp32_router_gemm_kernelIfLi128ELi23ELi256ELi3072EEvPfPKT_PKf
		.amdhsa_group_segment_fixed_size 368
		.amdhsa_private_segment_fixed_size 0
		.amdhsa_kernarg_size 24
		.amdhsa_user_sgpr_count 6
		.amdhsa_user_sgpr_private_segment_buffer 1
		.amdhsa_user_sgpr_dispatch_ptr 0
		.amdhsa_user_sgpr_queue_ptr 0
		.amdhsa_user_sgpr_kernarg_segment_ptr 1
		.amdhsa_user_sgpr_dispatch_id 0
		.amdhsa_user_sgpr_flat_scratch_init 0
		.amdhsa_user_sgpr_kernarg_preload_length 0
		.amdhsa_user_sgpr_kernarg_preload_offset 0
		.amdhsa_user_sgpr_private_segment_size 0
		.amdhsa_uses_dynamic_stack 0
		.amdhsa_system_sgpr_private_segment_wavefront_offset 0
		.amdhsa_system_sgpr_workgroup_id_x 1
		.amdhsa_system_sgpr_workgroup_id_y 0
		.amdhsa_system_sgpr_workgroup_id_z 0
		.amdhsa_system_sgpr_workgroup_info 0
		.amdhsa_system_vgpr_workitem_id 0
		.amdhsa_next_free_vgpr 54
		.amdhsa_next_free_sgpr 31
		.amdhsa_accum_offset 56
		.amdhsa_reserve_vcc 1
		.amdhsa_reserve_flat_scratch 0
		.amdhsa_float_round_mode_32 0
		.amdhsa_float_round_mode_16_64 0
		.amdhsa_float_denorm_mode_32 3
		.amdhsa_float_denorm_mode_16_64 3
		.amdhsa_dx10_clamp 1
		.amdhsa_ieee_mode 1
		.amdhsa_fp16_overflow 0
		.amdhsa_tg_split 0
		.amdhsa_exception_fp_ieee_invalid_op 0
		.amdhsa_exception_fp_denorm_src 0
		.amdhsa_exception_fp_ieee_div_zero 0
		.amdhsa_exception_fp_ieee_overflow 0
		.amdhsa_exception_fp_ieee_underflow 0
		.amdhsa_exception_fp_ieee_inexact 0
		.amdhsa_exception_int_div_zero 0
	.end_amdhsa_kernel
	.section	.text._Z23fp32_router_gemm_kernelIfLi128ELi23ELi256ELi3072EEvPfPKT_PKf,"axG",@progbits,_Z23fp32_router_gemm_kernelIfLi128ELi23ELi256ELi3072EEvPfPKT_PKf,comdat
.Lfunc_end22:
	.size	_Z23fp32_router_gemm_kernelIfLi128ELi23ELi256ELi3072EEvPfPKT_PKf, .Lfunc_end22-_Z23fp32_router_gemm_kernelIfLi128ELi23ELi256ELi3072EEvPfPKT_PKf
                                        ; -- End function
	.section	.AMDGPU.csdata,"",@progbits
; Kernel info:
; codeLenInByte = 4612
; NumSgprs: 35
; NumVgprs: 54
; NumAgprs: 0
; TotalNumVgprs: 54
; ScratchSize: 0
; MemoryBound: 0
; FloatMode: 240
; IeeeMode: 1
; LDSByteSize: 368 bytes/workgroup (compile time only)
; SGPRBlocks: 4
; VGPRBlocks: 6
; NumSGPRsForWavesPerEU: 35
; NumVGPRsForWavesPerEU: 54
; AccumOffset: 56
; Occupancy: 8
; WaveLimiterHint : 1
; COMPUTE_PGM_RSRC2:SCRATCH_EN: 0
; COMPUTE_PGM_RSRC2:USER_SGPR: 6
; COMPUTE_PGM_RSRC2:TRAP_HANDLER: 0
; COMPUTE_PGM_RSRC2:TGID_X_EN: 1
; COMPUTE_PGM_RSRC2:TGID_Y_EN: 0
; COMPUTE_PGM_RSRC2:TGID_Z_EN: 0
; COMPUTE_PGM_RSRC2:TIDIG_COMP_CNT: 0
; COMPUTE_PGM_RSRC3_GFX90A:ACCUM_OFFSET: 13
; COMPUTE_PGM_RSRC3_GFX90A:TG_SPLIT: 0
	.section	.text._Z23fp32_router_gemm_kernelIfLi128ELi24ELi256ELi3072EEvPfPKT_PKf,"axG",@progbits,_Z23fp32_router_gemm_kernelIfLi128ELi24ELi256ELi3072EEvPfPKT_PKf,comdat
	.protected	_Z23fp32_router_gemm_kernelIfLi128ELi24ELi256ELi3072EEvPfPKT_PKf ; -- Begin function _Z23fp32_router_gemm_kernelIfLi128ELi24ELi256ELi3072EEvPfPKT_PKf
	.globl	_Z23fp32_router_gemm_kernelIfLi128ELi24ELi256ELi3072EEvPfPKT_PKf
	.p2align	8
	.type	_Z23fp32_router_gemm_kernelIfLi128ELi24ELi256ELi3072EEvPfPKT_PKf,@function
_Z23fp32_router_gemm_kernelIfLi128ELi24ELi256ELi3072EEvPfPKT_PKf: ; @_Z23fp32_router_gemm_kernelIfLi128ELi24ELi256ELi3072EEvPfPKT_PKf
; %bb.0:
	s_load_dwordx4 s[0:3], s[4:5], 0x0
	s_load_dwordx2 s[8:9], s[4:5], 0x10
	s_mul_i32 s4, s6, 0xc00
	s_ashr_i32 s5, s4, 31
	s_lshl_b64 s[4:5], s[4:5], 2
	v_lshlrev_b32_e32 v2, 2, v0
	s_waitcnt lgkmcnt(0)
	s_add_u32 s4, s8, s4
	v_or_b32_e32 v1, 0x200, v2
	v_or_b32_e32 v4, 0x400, v2
	;; [unrolled: 1-line block ×4, first 2 shown]
	s_addc_u32 s5, s9, s5
	s_mov_b64 s[8:9], 0
	v_mov_b32_e32 v38, 0
	v_mov_b32_e32 v39, s3
	s_movk_i32 s7, 0x3000
	s_movk_i32 s10, 0x6000
	s_mov_b32 s11, 0x9000
	s_mov_b32 s12, 0xc000
	;; [unrolled: 1-line block ×21, first 2 shown]
	v_mov_b32_e32 v37, 0
	v_mov_b32_e32 v36, 0
	;; [unrolled: 1-line block ×23, first 2 shown]
	v_or_b32_e32 v5, 0xa00, v2
.LBB23_1:                               ; =>This Inner Loop Header: Depth=1
	s_cmp_eq_u32 s8, 1
	s_cselect_b64 vcc, -1, 0
	s_cmp_eq_u32 s8, 2
	v_cndmask_b32_e32 v8, v2, v1, vcc
	s_cselect_b64 vcc, -1, 0
	s_cmp_eq_u32 s8, 3
	v_cndmask_b32_e32 v8, v8, v4, vcc
	;; [unrolled: 3-line block ×4, first 2 shown]
	s_cselect_b64 vcc, -1, 0
	v_cndmask_b32_e32 v8, v8, v5, vcc
	v_lshlrev_b32_e32 v52, 2, v8
	v_add_co_u32_e32 v53, vcc, s2, v52
	v_addc_co_u32_e32 v54, vcc, 0, v39, vcc
	v_add_co_u32_e32 v48, vcc, s7, v53
	v_addc_co_u32_e32 v49, vcc, 0, v54, vcc
	v_add_co_u32_e32 v50, vcc, s10, v53
	v_addc_co_u32_e32 v51, vcc, 0, v54, vcc
	global_load_dwordx4 v[40:43], v[48:49], off
	global_load_dwordx4 v[44:47], v[50:51], off
	global_load_dwordx4 v[8:11], v52, s[4:5]
	global_load_dwordx4 v[12:15], v52, s[2:3]
	v_add_co_u32_e32 v48, vcc, s11, v53
	v_addc_co_u32_e32 v49, vcc, 0, v54, vcc
	v_add_co_u32_e32 v50, vcc, s12, v53
	v_addc_co_u32_e32 v51, vcc, 0, v54, vcc
	s_add_u32 s8, s8, 1
	s_addc_u32 s9, s9, 0
	s_cmp_eq_u32 s8, 6
	s_waitcnt vmcnt(1)
	v_fmac_f32_e32 v37, v40, v8
	v_fmac_f32_e32 v36, v44, v8
	;; [unrolled: 1-line block ×8, first 2 shown]
	global_load_dwordx4 v[40:43], v[48:49], off
	global_load_dwordx4 v[44:47], v[50:51], off
	v_add_co_u32_e32 v48, vcc, s13, v53
	v_addc_co_u32_e32 v49, vcc, 0, v54, vcc
	v_add_co_u32_e32 v50, vcc, s14, v53
	v_addc_co_u32_e32 v51, vcc, 0, v54, vcc
	s_waitcnt vmcnt(1)
	v_fmac_f32_e32 v35, v40, v8
	s_waitcnt vmcnt(0)
	v_fmac_f32_e32 v34, v44, v8
	v_fmac_f32_e32 v35, v41, v9
	v_fmac_f32_e32 v34, v45, v9
	v_fmac_f32_e32 v35, v42, v10
	v_fmac_f32_e32 v34, v46, v10
	v_fmac_f32_e32 v35, v43, v11
	v_fmac_f32_e32 v34, v47, v11
	global_load_dwordx4 v[40:43], v[48:49], off
	global_load_dwordx4 v[44:47], v[50:51], off
	v_add_co_u32_e32 v48, vcc, s15, v53
	v_addc_co_u32_e32 v49, vcc, 0, v54, vcc
	v_add_co_u32_e32 v50, vcc, s16, v53
	v_addc_co_u32_e32 v51, vcc, 0, v54, vcc
	s_waitcnt vmcnt(1)
	v_fmac_f32_e32 v33, v40, v8
	s_waitcnt vmcnt(0)
	v_fmac_f32_e32 v32, v44, v8
	v_fmac_f32_e32 v33, v41, v9
	v_fmac_f32_e32 v32, v45, v9
	v_fmac_f32_e32 v33, v42, v10
	v_fmac_f32_e32 v32, v46, v10
	v_fmac_f32_e32 v33, v43, v11
	v_fmac_f32_e32 v32, v47, v11
	;; [unrolled: 16-line block ×9, first 2 shown]
	global_load_dwordx4 v[40:43], v[48:49], off
	global_load_dwordx4 v[44:47], v[50:51], off
	s_waitcnt vmcnt(1)
	v_fmac_f32_e32 v17, v40, v8
	v_fmac_f32_e32 v17, v41, v9
	v_add_co_u32_e32 v40, vcc, s31, v53
	v_fmac_f32_e32 v17, v42, v10
	v_addc_co_u32_e32 v41, vcc, 0, v54, vcc
	v_fmac_f32_e32 v17, v43, v11
	global_load_dwordx4 v[40:43], v[40:41], off
	s_waitcnt vmcnt(1)
	v_fmac_f32_e32 v16, v44, v8
	v_fmac_f32_e32 v16, v45, v9
	;; [unrolled: 1-line block ×4, first 2 shown]
	s_waitcnt vmcnt(0)
	v_fmac_f32_e32 v7, v40, v8
	v_fmac_f32_e32 v7, v41, v9
	v_pk_mul_f32 v[8:9], v[12:13], v[8:9]
	v_fmac_f32_e32 v7, v42, v10
	v_add_f32_e32 v8, v8, v38
	v_fmac_f32_e32 v7, v43, v11
	v_pk_mul_f32 v[10:11], v[14:15], v[10:11]
	v_add_f32_e32 v8, v9, v8
	v_add_f32_e32 v8, v10, v8
	;; [unrolled: 1-line block ×3, first 2 shown]
	s_cbranch_scc0 .LBB23_1
; %bb.2:
	v_mbcnt_lo_u32_b32 v1, -1, 0
	v_mbcnt_hi_u32_b32 v5, -1, v1
	v_and_b32_e32 v2, 64, v5
	v_xor_b32_e32 v1, 16, v5
	v_add_u32_e32 v6, 64, v2
	v_cmp_lt_i32_e32 vcc, v1, v6
	v_cndmask_b32_e32 v1, v5, v1, vcc
	v_lshlrev_b32_e32 v1, 2, v1
	ds_bpermute_b32 v3, v1, v38
	v_xor_b32_e32 v2, 8, v5
	v_cmp_lt_i32_e32 vcc, v2, v6
	v_cndmask_b32_e32 v2, v5, v2, vcc
	v_lshlrev_b32_e32 v2, 2, v2
	s_waitcnt lgkmcnt(0)
	v_add_f32_e32 v4, v38, v3
	ds_bpermute_b32 v8, v2, v4
	v_xor_b32_e32 v3, 4, v5
	v_cmp_lt_i32_e32 vcc, v3, v6
	v_cndmask_b32_e32 v3, v5, v3, vcc
	v_lshlrev_b32_e32 v3, 2, v3
	s_waitcnt lgkmcnt(0)
	v_add_f32_e32 v8, v4, v8
	;; [unrolled: 7-line block ×4, first 2 shown]
	ds_bpermute_b32 v9, v6, v8
	v_lshrrev_b32_e32 v5, 5, v0
	v_and_b32_e32 v10, 31, v0
	v_cmp_eq_u32_e32 vcc, 0, v10
	v_lshlrev_b32_e32 v5, 2, v5
	s_and_saveexec_b64 s[2:3], vcc
	s_cbranch_execz .LBB23_4
; %bb.3:
	s_waitcnt lgkmcnt(0)
	v_add_f32_e32 v8, v8, v9
	ds_write_b32 v5, v8
.LBB23_4:
	s_or_b64 exec, exec, s[2:3]
	ds_bpermute_b32 v8, v1, v37
	s_waitcnt lgkmcnt(0)
	v_add_f32_e32 v8, v37, v8
	ds_bpermute_b32 v9, v2, v8
	s_waitcnt lgkmcnt(0)
	v_add_f32_e32 v8, v8, v9
	ds_bpermute_b32 v9, v3, v8
	s_waitcnt lgkmcnt(0)
	v_add_f32_e32 v8, v8, v9
	ds_bpermute_b32 v9, v4, v8
	s_waitcnt lgkmcnt(0)
	v_add_f32_e32 v8, v8, v9
	ds_bpermute_b32 v9, v6, v8
	s_and_saveexec_b64 s[2:3], vcc
	s_cbranch_execz .LBB23_6
; %bb.5:
	s_waitcnt lgkmcnt(0)
	v_add_f32_e32 v8, v8, v9
	ds_write_b32 v5, v8 offset:16
.LBB23_6:
	s_or_b64 exec, exec, s[2:3]
	ds_bpermute_b32 v8, v1, v36
	s_waitcnt lgkmcnt(0)
	v_add_f32_e32 v8, v36, v8
	ds_bpermute_b32 v9, v2, v8
	s_waitcnt lgkmcnt(0)
	v_add_f32_e32 v8, v8, v9
	ds_bpermute_b32 v9, v3, v8
	s_waitcnt lgkmcnt(0)
	v_add_f32_e32 v8, v8, v9
	ds_bpermute_b32 v9, v4, v8
	s_waitcnt lgkmcnt(0)
	v_add_f32_e32 v8, v8, v9
	ds_bpermute_b32 v9, v6, v8
	s_and_saveexec_b64 s[2:3], vcc
	s_cbranch_execz .LBB23_8
; %bb.7:
	s_waitcnt lgkmcnt(0)
	v_add_f32_e32 v8, v8, v9
	ds_write_b32 v5, v8 offset:32
.LBB23_8:
	;; [unrolled: 21-line block ×23, first 2 shown]
	s_or_b64 exec, exec, s[2:3]
	v_cmp_eq_u32_e32 vcc, 0, v0
	s_waitcnt lgkmcnt(0)
	s_barrier
	s_and_saveexec_b64 s[2:3], vcc
	s_cbranch_execz .LBB23_52
; %bb.51:
	v_mov_b32_e32 v16, 0
	ds_read_b128 v[0:3], v16
	s_ashr_i32 s7, s6, 31
	ds_read_b128 v[4:7], v16 offset:16
	ds_read_b128 v[8:11], v16 offset:32
	;; [unrolled: 1-line block ×3, first 2 shown]
	s_lshl_b64 s[2:3], s[6:7], 2
	s_add_u32 s0, s0, s2
	s_waitcnt lgkmcnt(3)
	v_add_f32_e32 v0, 0, v0
	v_add_f32_e32 v0, v0, v1
	;; [unrolled: 1-line block ×4, first 2 shown]
	s_addc_u32 s1, s1, s3
	global_store_dword v16, v0, s[0:1]
	s_waitcnt lgkmcnt(2)
	v_add_f32_e32 v0, 0, v4
	v_add_f32_e32 v0, v0, v5
	;; [unrolled: 1-line block ×4, first 2 shown]
	global_store_dword v16, v0, s[0:1] offset:1024
	s_waitcnt lgkmcnt(1)
	v_add_f32_e32 v0, 0, v8
	v_add_f32_e32 v0, v0, v9
	;; [unrolled: 1-line block ×4, first 2 shown]
	global_store_dword v16, v0, s[0:1] offset:2048
	s_waitcnt lgkmcnt(0)
	v_add_f32_e32 v0, 0, v12
	v_add_f32_e32 v4, v0, v13
	ds_read_b128 v[0:3], v16 offset:64
	v_add_f32_e32 v4, v4, v14
	v_add_f32_e32 v4, v4, v15
	global_store_dword v16, v4, s[0:1] offset:3072
	ds_read_b128 v[4:7], v16 offset:80
	s_waitcnt lgkmcnt(1)
	v_add_f32_e32 v0, 0, v0
	v_add_f32_e32 v0, v0, v1
	v_add_f32_e32 v0, v0, v2
	v_add_f32_e32 v0, v0, v3
	v_mov_b32_e32 v8, 0x1000
	global_store_dword v8, v0, s[0:1]
	s_waitcnt lgkmcnt(0)
	v_add_f32_e32 v0, 0, v4
	v_add_f32_e32 v4, v0, v5
	ds_read_b128 v[0:3], v16 offset:96
	v_add_f32_e32 v4, v4, v6
	v_add_f32_e32 v4, v4, v7
	global_store_dword v8, v4, s[0:1] offset:1024
	ds_read_b128 v[4:7], v16 offset:112
	s_waitcnt lgkmcnt(1)
	v_add_f32_e32 v0, 0, v0
	v_add_f32_e32 v0, v0, v1
	;; [unrolled: 1-line block ×4, first 2 shown]
	global_store_dword v8, v0, s[0:1] offset:2048
	s_waitcnt lgkmcnt(0)
	v_add_f32_e32 v0, 0, v4
	v_add_f32_e32 v4, v0, v5
	ds_read_b128 v[0:3], v16 offset:128
	v_add_f32_e32 v4, v4, v6
	v_add_f32_e32 v4, v4, v7
	global_store_dword v8, v4, s[0:1] offset:3072
	ds_read_b128 v[4:7], v16 offset:144
	s_waitcnt lgkmcnt(1)
	v_add_f32_e32 v0, 0, v0
	v_add_f32_e32 v0, v0, v1
	;; [unrolled: 1-line block ×4, first 2 shown]
	v_mov_b32_e32 v12, 0x2000
	global_store_dword v12, v0, s[0:1]
	ds_read_b128 v[0:3], v16 offset:160
	ds_read_b128 v[8:11], v16 offset:176
	s_waitcnt lgkmcnt(2)
	v_add_f32_e32 v4, 0, v4
	v_add_f32_e32 v4, v4, v5
	;; [unrolled: 1-line block ×3, first 2 shown]
	s_waitcnt lgkmcnt(1)
	v_add_f32_e32 v0, 0, v0
	v_add_f32_e32 v0, v0, v1
	;; [unrolled: 1-line block ×5, first 2 shown]
	global_store_dword v12, v0, s[0:1] offset:2048
	s_waitcnt lgkmcnt(0)
	v_add_f32_e32 v0, 0, v8
	global_store_dword v12, v4, s[0:1] offset:1024
	v_add_f32_e32 v4, v0, v9
	ds_read_b128 v[0:3], v16 offset:192
	v_add_f32_e32 v4, v4, v10
	v_add_f32_e32 v4, v4, v11
	global_store_dword v12, v4, s[0:1] offset:3072
	ds_read_b128 v[4:7], v16 offset:208
	s_waitcnt lgkmcnt(1)
	v_add_f32_e32 v0, 0, v0
	v_add_f32_e32 v0, v0, v1
	;; [unrolled: 1-line block ×4, first 2 shown]
	v_mov_b32_e32 v8, 0x3000
	global_store_dword v8, v0, s[0:1]
	s_waitcnt lgkmcnt(0)
	v_add_f32_e32 v0, 0, v4
	v_add_f32_e32 v4, v0, v5
	ds_read_b128 v[0:3], v16 offset:224
	v_add_f32_e32 v4, v4, v6
	v_add_f32_e32 v4, v4, v7
	global_store_dword v8, v4, s[0:1] offset:1024
	ds_read_b128 v[4:7], v16 offset:240
	s_waitcnt lgkmcnt(1)
	v_add_f32_e32 v0, 0, v0
	v_add_f32_e32 v0, v0, v1
	;; [unrolled: 1-line block ×4, first 2 shown]
	global_store_dword v8, v0, s[0:1] offset:2048
	s_waitcnt lgkmcnt(0)
	v_add_f32_e32 v0, 0, v4
	v_add_f32_e32 v4, v0, v5
	ds_read_b128 v[0:3], v16 offset:256
	v_add_f32_e32 v4, v4, v6
	v_add_f32_e32 v4, v4, v7
	global_store_dword v8, v4, s[0:1] offset:3072
	ds_read_b128 v[4:7], v16 offset:272
	s_waitcnt lgkmcnt(1)
	v_add_f32_e32 v0, 0, v0
	v_add_f32_e32 v0, v0, v1
	;; [unrolled: 1-line block ×4, first 2 shown]
	v_mov_b32_e32 v12, 0x4000
	global_store_dword v12, v0, s[0:1]
	ds_read_b128 v[0:3], v16 offset:288
	ds_read_b128 v[8:11], v16 offset:304
	s_waitcnt lgkmcnt(2)
	v_add_f32_e32 v4, 0, v4
	v_add_f32_e32 v4, v4, v5
	;; [unrolled: 1-line block ×3, first 2 shown]
	s_waitcnt lgkmcnt(1)
	v_add_f32_e32 v0, 0, v0
	v_add_f32_e32 v0, v0, v1
	;; [unrolled: 1-line block ×5, first 2 shown]
	global_store_dword v12, v0, s[0:1] offset:2048
	s_waitcnt lgkmcnt(0)
	v_add_f32_e32 v0, 0, v8
	global_store_dword v12, v4, s[0:1] offset:1024
	v_add_f32_e32 v4, v0, v9
	ds_read_b128 v[0:3], v16 offset:320
	v_add_f32_e32 v4, v4, v10
	v_add_f32_e32 v4, v4, v11
	global_store_dword v12, v4, s[0:1] offset:3072
	ds_read_b128 v[4:7], v16 offset:336
	s_waitcnt lgkmcnt(1)
	v_add_f32_e32 v0, 0, v0
	v_add_f32_e32 v0, v0, v1
	;; [unrolled: 1-line block ×4, first 2 shown]
	v_mov_b32_e32 v8, 0x5000
	global_store_dword v8, v0, s[0:1]
	s_waitcnt lgkmcnt(0)
	v_add_f32_e32 v0, 0, v4
	v_add_f32_e32 v4, v0, v5
	ds_read_b128 v[0:3], v16 offset:352
	v_add_f32_e32 v4, v4, v6
	v_add_f32_e32 v4, v4, v7
	global_store_dword v8, v4, s[0:1] offset:1024
	ds_read_b128 v[4:7], v16 offset:368
	s_waitcnt lgkmcnt(1)
	v_add_f32_e32 v0, 0, v0
	v_add_f32_e32 v0, v0, v1
	;; [unrolled: 1-line block ×4, first 2 shown]
	global_store_dword v8, v0, s[0:1] offset:2048
	s_waitcnt lgkmcnt(0)
	v_add_f32_e32 v0, 0, v4
	v_add_f32_e32 v0, v0, v5
	;; [unrolled: 1-line block ×4, first 2 shown]
	global_store_dword v8, v0, s[0:1] offset:3072
.LBB23_52:
	s_endpgm
	.section	.rodata,"a",@progbits
	.p2align	6, 0x0
	.amdhsa_kernel _Z23fp32_router_gemm_kernelIfLi128ELi24ELi256ELi3072EEvPfPKT_PKf
		.amdhsa_group_segment_fixed_size 384
		.amdhsa_private_segment_fixed_size 0
		.amdhsa_kernarg_size 24
		.amdhsa_user_sgpr_count 6
		.amdhsa_user_sgpr_private_segment_buffer 1
		.amdhsa_user_sgpr_dispatch_ptr 0
		.amdhsa_user_sgpr_queue_ptr 0
		.amdhsa_user_sgpr_kernarg_segment_ptr 1
		.amdhsa_user_sgpr_dispatch_id 0
		.amdhsa_user_sgpr_flat_scratch_init 0
		.amdhsa_user_sgpr_kernarg_preload_length 0
		.amdhsa_user_sgpr_kernarg_preload_offset 0
		.amdhsa_user_sgpr_private_segment_size 0
		.amdhsa_uses_dynamic_stack 0
		.amdhsa_system_sgpr_private_segment_wavefront_offset 0
		.amdhsa_system_sgpr_workgroup_id_x 1
		.amdhsa_system_sgpr_workgroup_id_y 0
		.amdhsa_system_sgpr_workgroup_id_z 0
		.amdhsa_system_sgpr_workgroup_info 0
		.amdhsa_system_vgpr_workitem_id 0
		.amdhsa_next_free_vgpr 55
		.amdhsa_next_free_sgpr 32
		.amdhsa_accum_offset 56
		.amdhsa_reserve_vcc 1
		.amdhsa_reserve_flat_scratch 0
		.amdhsa_float_round_mode_32 0
		.amdhsa_float_round_mode_16_64 0
		.amdhsa_float_denorm_mode_32 3
		.amdhsa_float_denorm_mode_16_64 3
		.amdhsa_dx10_clamp 1
		.amdhsa_ieee_mode 1
		.amdhsa_fp16_overflow 0
		.amdhsa_tg_split 0
		.amdhsa_exception_fp_ieee_invalid_op 0
		.amdhsa_exception_fp_denorm_src 0
		.amdhsa_exception_fp_ieee_div_zero 0
		.amdhsa_exception_fp_ieee_overflow 0
		.amdhsa_exception_fp_ieee_underflow 0
		.amdhsa_exception_fp_ieee_inexact 0
		.amdhsa_exception_int_div_zero 0
	.end_amdhsa_kernel
	.section	.text._Z23fp32_router_gemm_kernelIfLi128ELi24ELi256ELi3072EEvPfPKT_PKf,"axG",@progbits,_Z23fp32_router_gemm_kernelIfLi128ELi24ELi256ELi3072EEvPfPKT_PKf,comdat
.Lfunc_end23:
	.size	_Z23fp32_router_gemm_kernelIfLi128ELi24ELi256ELi3072EEvPfPKT_PKf, .Lfunc_end23-_Z23fp32_router_gemm_kernelIfLi128ELi24ELi256ELi3072EEvPfPKT_PKf
                                        ; -- End function
	.section	.AMDGPU.csdata,"",@progbits
; Kernel info:
; codeLenInByte = 4796
; NumSgprs: 36
; NumVgprs: 55
; NumAgprs: 0
; TotalNumVgprs: 55
; ScratchSize: 0
; MemoryBound: 0
; FloatMode: 240
; IeeeMode: 1
; LDSByteSize: 384 bytes/workgroup (compile time only)
; SGPRBlocks: 4
; VGPRBlocks: 6
; NumSGPRsForWavesPerEU: 36
; NumVGPRsForWavesPerEU: 55
; AccumOffset: 56
; Occupancy: 8
; WaveLimiterHint : 1
; COMPUTE_PGM_RSRC2:SCRATCH_EN: 0
; COMPUTE_PGM_RSRC2:USER_SGPR: 6
; COMPUTE_PGM_RSRC2:TRAP_HANDLER: 0
; COMPUTE_PGM_RSRC2:TGID_X_EN: 1
; COMPUTE_PGM_RSRC2:TGID_Y_EN: 0
; COMPUTE_PGM_RSRC2:TGID_Z_EN: 0
; COMPUTE_PGM_RSRC2:TIDIG_COMP_CNT: 0
; COMPUTE_PGM_RSRC3_GFX90A:ACCUM_OFFSET: 13
; COMPUTE_PGM_RSRC3_GFX90A:TG_SPLIT: 0
	.section	.text._Z23fp32_router_gemm_kernelIfLi128ELi25ELi256ELi3072EEvPfPKT_PKf,"axG",@progbits,_Z23fp32_router_gemm_kernelIfLi128ELi25ELi256ELi3072EEvPfPKT_PKf,comdat
	.protected	_Z23fp32_router_gemm_kernelIfLi128ELi25ELi256ELi3072EEvPfPKT_PKf ; -- Begin function _Z23fp32_router_gemm_kernelIfLi128ELi25ELi256ELi3072EEvPfPKT_PKf
	.globl	_Z23fp32_router_gemm_kernelIfLi128ELi25ELi256ELi3072EEvPfPKT_PKf
	.p2align	8
	.type	_Z23fp32_router_gemm_kernelIfLi128ELi25ELi256ELi3072EEvPfPKT_PKf,@function
_Z23fp32_router_gemm_kernelIfLi128ELi25ELi256ELi3072EEvPfPKT_PKf: ; @_Z23fp32_router_gemm_kernelIfLi128ELi25ELi256ELi3072EEvPfPKT_PKf
; %bb.0:
	s_load_dwordx4 s[0:3], s[4:5], 0x0
	s_load_dwordx2 s[8:9], s[4:5], 0x10
	s_mul_i32 s4, s6, 0xc00
	s_ashr_i32 s5, s4, 31
	s_lshl_b64 s[4:5], s[4:5], 2
	v_lshlrev_b32_e32 v2, 2, v0
	s_waitcnt lgkmcnt(0)
	s_add_u32 s4, s8, s4
	v_or_b32_e32 v1, 0x200, v2
	v_or_b32_e32 v4, 0x400, v2
	;; [unrolled: 1-line block ×4, first 2 shown]
	s_addc_u32 s5, s9, s5
	s_mov_b64 s[8:9], 0
	v_mov_b32_e32 v39, 0
	v_mov_b32_e32 v40, s3
	s_movk_i32 s7, 0x3000
	s_movk_i32 s10, 0x6000
	s_mov_b32 s11, 0x9000
	s_mov_b32 s12, 0xc000
	;; [unrolled: 1-line block ×22, first 2 shown]
	v_mov_b32_e32 v38, 0
	v_mov_b32_e32 v37, 0
	v_mov_b32_e32 v36, 0
	v_mov_b32_e32 v35, 0
	v_mov_b32_e32 v34, 0
	v_mov_b32_e32 v33, 0
	v_mov_b32_e32 v32, 0
	v_mov_b32_e32 v31, 0
	v_mov_b32_e32 v30, 0
	v_mov_b32_e32 v29, 0
	v_mov_b32_e32 v28, 0
	v_mov_b32_e32 v27, 0
	v_mov_b32_e32 v26, 0
	v_mov_b32_e32 v25, 0
	v_mov_b32_e32 v24, 0
	v_mov_b32_e32 v23, 0
	v_mov_b32_e32 v22, 0
	v_mov_b32_e32 v21, 0
	v_mov_b32_e32 v20, 0
	v_mov_b32_e32 v19, 0
	v_mov_b32_e32 v18, 0
	v_mov_b32_e32 v17, 0
	v_mov_b32_e32 v16, 0
	v_mov_b32_e32 v7, 0
	v_or_b32_e32 v5, 0xa00, v2
.LBB24_1:                               ; =>This Inner Loop Header: Depth=1
	s_cmp_eq_u32 s8, 1
	s_cselect_b64 vcc, -1, 0
	s_cmp_eq_u32 s8, 2
	v_cndmask_b32_e32 v8, v2, v1, vcc
	s_cselect_b64 vcc, -1, 0
	s_cmp_eq_u32 s8, 3
	v_cndmask_b32_e32 v8, v8, v4, vcc
	s_cselect_b64 vcc, -1, 0
	s_cmp_eq_u32 s8, 4
	v_cndmask_b32_e32 v8, v8, v3, vcc
	s_cselect_b64 vcc, -1, 0
	s_cmp_eq_u32 s8, 5
	v_cndmask_b32_e32 v8, v8, v6, vcc
	s_cselect_b64 vcc, -1, 0
	v_cndmask_b32_e32 v8, v8, v5, vcc
	v_lshlrev_b32_e32 v41, 2, v8
	v_add_co_u32_e32 v54, vcc, s2, v41
	v_addc_co_u32_e32 v55, vcc, 0, v40, vcc
	v_add_co_u32_e32 v50, vcc, s7, v54
	v_addc_co_u32_e32 v51, vcc, 0, v55, vcc
	;; [unrolled: 2-line block ×3, first 2 shown]
	global_load_dwordx4 v[42:45], v[50:51], off
	global_load_dwordx4 v[46:49], v[52:53], off
	global_load_dwordx4 v[8:11], v41, s[4:5]
	global_load_dwordx4 v[12:15], v41, s[2:3]
	v_add_co_u32_e32 v50, vcc, s11, v54
	v_addc_co_u32_e32 v51, vcc, 0, v55, vcc
	v_add_co_u32_e32 v52, vcc, s12, v54
	v_addc_co_u32_e32 v53, vcc, 0, v55, vcc
	s_add_u32 s8, s8, 1
	s_addc_u32 s9, s9, 0
	s_cmp_eq_u32 s8, 6
	s_waitcnt vmcnt(1)
	v_fmac_f32_e32 v38, v42, v8
	v_fmac_f32_e32 v37, v46, v8
	;; [unrolled: 1-line block ×8, first 2 shown]
	global_load_dwordx4 v[42:45], v[50:51], off
	global_load_dwordx4 v[46:49], v[52:53], off
	v_add_co_u32_e32 v50, vcc, s13, v54
	v_addc_co_u32_e32 v51, vcc, 0, v55, vcc
	v_add_co_u32_e32 v52, vcc, s14, v54
	v_addc_co_u32_e32 v53, vcc, 0, v55, vcc
	s_waitcnt vmcnt(1)
	v_fmac_f32_e32 v36, v42, v8
	s_waitcnt vmcnt(0)
	v_fmac_f32_e32 v35, v46, v8
	v_fmac_f32_e32 v36, v43, v9
	v_fmac_f32_e32 v35, v47, v9
	v_fmac_f32_e32 v36, v44, v10
	v_fmac_f32_e32 v35, v48, v10
	v_fmac_f32_e32 v36, v45, v11
	v_fmac_f32_e32 v35, v49, v11
	global_load_dwordx4 v[42:45], v[50:51], off
	global_load_dwordx4 v[46:49], v[52:53], off
	v_add_co_u32_e32 v50, vcc, s15, v54
	v_addc_co_u32_e32 v51, vcc, 0, v55, vcc
	v_add_co_u32_e32 v52, vcc, s16, v54
	v_addc_co_u32_e32 v53, vcc, 0, v55, vcc
	s_waitcnt vmcnt(1)
	v_fmac_f32_e32 v34, v42, v8
	s_waitcnt vmcnt(0)
	v_fmac_f32_e32 v33, v46, v8
	v_fmac_f32_e32 v34, v43, v9
	v_fmac_f32_e32 v33, v47, v9
	v_fmac_f32_e32 v34, v44, v10
	v_fmac_f32_e32 v33, v48, v10
	v_fmac_f32_e32 v34, v45, v11
	v_fmac_f32_e32 v33, v49, v11
	;; [unrolled: 16-line block ×10, first 2 shown]
	global_load_dwordx4 v[42:45], v[50:51], off
	global_load_dwordx4 v[46:49], v[52:53], off
	s_waitcnt vmcnt(1)
	v_fmac_f32_e32 v16, v42, v8
	s_waitcnt vmcnt(0)
	v_fmac_f32_e32 v7, v46, v8
	v_fmac_f32_e32 v16, v43, v9
	;; [unrolled: 1-line block ×3, first 2 shown]
	v_pk_mul_f32 v[8:9], v[12:13], v[8:9]
	v_fmac_f32_e32 v16, v44, v10
	v_fmac_f32_e32 v7, v48, v10
	v_add_f32_e32 v8, v8, v39
	v_fmac_f32_e32 v16, v45, v11
	v_fmac_f32_e32 v7, v49, v11
	v_pk_mul_f32 v[10:11], v[14:15], v[10:11]
	v_add_f32_e32 v8, v9, v8
	v_add_f32_e32 v8, v10, v8
	;; [unrolled: 1-line block ×3, first 2 shown]
	s_cbranch_scc0 .LBB24_1
; %bb.2:
	v_mbcnt_lo_u32_b32 v1, -1, 0
	v_mbcnt_hi_u32_b32 v5, -1, v1
	v_and_b32_e32 v2, 64, v5
	v_xor_b32_e32 v1, 16, v5
	v_add_u32_e32 v6, 64, v2
	v_cmp_lt_i32_e32 vcc, v1, v6
	v_cndmask_b32_e32 v1, v5, v1, vcc
	v_lshlrev_b32_e32 v1, 2, v1
	ds_bpermute_b32 v3, v1, v39
	v_xor_b32_e32 v2, 8, v5
	v_cmp_lt_i32_e32 vcc, v2, v6
	v_cndmask_b32_e32 v2, v5, v2, vcc
	v_lshlrev_b32_e32 v2, 2, v2
	s_waitcnt lgkmcnt(0)
	v_add_f32_e32 v4, v39, v3
	ds_bpermute_b32 v8, v2, v4
	v_xor_b32_e32 v3, 4, v5
	v_cmp_lt_i32_e32 vcc, v3, v6
	v_cndmask_b32_e32 v3, v5, v3, vcc
	v_lshlrev_b32_e32 v3, 2, v3
	s_waitcnt lgkmcnt(0)
	v_add_f32_e32 v8, v4, v8
	;; [unrolled: 7-line block ×4, first 2 shown]
	ds_bpermute_b32 v9, v6, v8
	v_lshrrev_b32_e32 v5, 5, v0
	v_and_b32_e32 v10, 31, v0
	v_cmp_eq_u32_e32 vcc, 0, v10
	v_lshlrev_b32_e32 v5, 2, v5
	s_and_saveexec_b64 s[2:3], vcc
	s_cbranch_execz .LBB24_4
; %bb.3:
	s_waitcnt lgkmcnt(0)
	v_add_f32_e32 v8, v8, v9
	ds_write_b32 v5, v8
.LBB24_4:
	s_or_b64 exec, exec, s[2:3]
	ds_bpermute_b32 v8, v1, v38
	s_waitcnt lgkmcnt(0)
	v_add_f32_e32 v8, v38, v8
	ds_bpermute_b32 v9, v2, v8
	s_waitcnt lgkmcnt(0)
	v_add_f32_e32 v8, v8, v9
	ds_bpermute_b32 v9, v3, v8
	s_waitcnt lgkmcnt(0)
	v_add_f32_e32 v8, v8, v9
	ds_bpermute_b32 v9, v4, v8
	s_waitcnt lgkmcnt(0)
	v_add_f32_e32 v8, v8, v9
	ds_bpermute_b32 v9, v6, v8
	s_and_saveexec_b64 s[2:3], vcc
	s_cbranch_execz .LBB24_6
; %bb.5:
	s_waitcnt lgkmcnt(0)
	v_add_f32_e32 v8, v8, v9
	ds_write_b32 v5, v8 offset:16
.LBB24_6:
	s_or_b64 exec, exec, s[2:3]
	ds_bpermute_b32 v8, v1, v37
	s_waitcnt lgkmcnt(0)
	v_add_f32_e32 v8, v37, v8
	ds_bpermute_b32 v9, v2, v8
	s_waitcnt lgkmcnt(0)
	v_add_f32_e32 v8, v8, v9
	ds_bpermute_b32 v9, v3, v8
	s_waitcnt lgkmcnt(0)
	v_add_f32_e32 v8, v8, v9
	ds_bpermute_b32 v9, v4, v8
	s_waitcnt lgkmcnt(0)
	v_add_f32_e32 v8, v8, v9
	ds_bpermute_b32 v9, v6, v8
	s_and_saveexec_b64 s[2:3], vcc
	s_cbranch_execz .LBB24_8
; %bb.7:
	s_waitcnt lgkmcnt(0)
	v_add_f32_e32 v8, v8, v9
	ds_write_b32 v5, v8 offset:32
.LBB24_8:
	;; [unrolled: 21-line block ×24, first 2 shown]
	s_or_b64 exec, exec, s[2:3]
	v_cmp_eq_u32_e32 vcc, 0, v0
	s_waitcnt lgkmcnt(0)
	s_barrier
	s_and_saveexec_b64 s[2:3], vcc
	s_cbranch_execz .LBB24_54
; %bb.53:
	v_mov_b32_e32 v16, 0
	ds_read_b128 v[0:3], v16
	s_ashr_i32 s7, s6, 31
	ds_read_b128 v[4:7], v16 offset:16
	ds_read_b128 v[8:11], v16 offset:32
	;; [unrolled: 1-line block ×3, first 2 shown]
	s_lshl_b64 s[2:3], s[6:7], 2
	s_add_u32 s0, s0, s2
	s_waitcnt lgkmcnt(3)
	v_add_f32_e32 v0, 0, v0
	v_add_f32_e32 v0, v0, v1
	;; [unrolled: 1-line block ×4, first 2 shown]
	s_addc_u32 s1, s1, s3
	global_store_dword v16, v0, s[0:1]
	s_waitcnt lgkmcnt(2)
	v_add_f32_e32 v0, 0, v4
	v_add_f32_e32 v0, v0, v5
	;; [unrolled: 1-line block ×4, first 2 shown]
	global_store_dword v16, v0, s[0:1] offset:1024
	s_waitcnt lgkmcnt(1)
	v_add_f32_e32 v0, 0, v8
	v_add_f32_e32 v0, v0, v9
	;; [unrolled: 1-line block ×4, first 2 shown]
	global_store_dword v16, v0, s[0:1] offset:2048
	s_waitcnt lgkmcnt(0)
	v_add_f32_e32 v0, 0, v12
	v_add_f32_e32 v4, v0, v13
	ds_read_b128 v[0:3], v16 offset:64
	v_add_f32_e32 v4, v4, v14
	v_add_f32_e32 v4, v4, v15
	global_store_dword v16, v4, s[0:1] offset:3072
	ds_read_b128 v[4:7], v16 offset:80
	s_waitcnt lgkmcnt(1)
	v_add_f32_e32 v0, 0, v0
	v_add_f32_e32 v0, v0, v1
	v_add_f32_e32 v0, v0, v2
	v_add_f32_e32 v0, v0, v3
	v_mov_b32_e32 v8, 0x1000
	global_store_dword v8, v0, s[0:1]
	s_waitcnt lgkmcnt(0)
	v_add_f32_e32 v0, 0, v4
	v_add_f32_e32 v4, v0, v5
	ds_read_b128 v[0:3], v16 offset:96
	v_add_f32_e32 v4, v4, v6
	v_add_f32_e32 v4, v4, v7
	global_store_dword v8, v4, s[0:1] offset:1024
	ds_read_b128 v[4:7], v16 offset:112
	s_waitcnt lgkmcnt(1)
	v_add_f32_e32 v0, 0, v0
	v_add_f32_e32 v0, v0, v1
	;; [unrolled: 1-line block ×4, first 2 shown]
	global_store_dword v8, v0, s[0:1] offset:2048
	s_waitcnt lgkmcnt(0)
	v_add_f32_e32 v0, 0, v4
	v_add_f32_e32 v4, v0, v5
	ds_read_b128 v[0:3], v16 offset:128
	v_add_f32_e32 v4, v4, v6
	v_add_f32_e32 v4, v4, v7
	global_store_dword v8, v4, s[0:1] offset:3072
	ds_read_b128 v[4:7], v16 offset:144
	s_waitcnt lgkmcnt(1)
	v_add_f32_e32 v0, 0, v0
	v_add_f32_e32 v0, v0, v1
	;; [unrolled: 1-line block ×4, first 2 shown]
	v_mov_b32_e32 v12, 0x2000
	global_store_dword v12, v0, s[0:1]
	ds_read_b128 v[0:3], v16 offset:160
	ds_read_b128 v[8:11], v16 offset:176
	s_waitcnt lgkmcnt(2)
	v_add_f32_e32 v4, 0, v4
	v_add_f32_e32 v4, v4, v5
	;; [unrolled: 1-line block ×3, first 2 shown]
	s_waitcnt lgkmcnt(1)
	v_add_f32_e32 v0, 0, v0
	v_add_f32_e32 v0, v0, v1
	;; [unrolled: 1-line block ×5, first 2 shown]
	global_store_dword v12, v0, s[0:1] offset:2048
	s_waitcnt lgkmcnt(0)
	v_add_f32_e32 v0, 0, v8
	global_store_dword v12, v4, s[0:1] offset:1024
	v_add_f32_e32 v4, v0, v9
	ds_read_b128 v[0:3], v16 offset:192
	v_add_f32_e32 v4, v4, v10
	v_add_f32_e32 v4, v4, v11
	global_store_dword v12, v4, s[0:1] offset:3072
	ds_read_b128 v[4:7], v16 offset:208
	s_waitcnt lgkmcnt(1)
	v_add_f32_e32 v0, 0, v0
	v_add_f32_e32 v0, v0, v1
	;; [unrolled: 1-line block ×4, first 2 shown]
	v_mov_b32_e32 v8, 0x3000
	global_store_dword v8, v0, s[0:1]
	s_waitcnt lgkmcnt(0)
	v_add_f32_e32 v0, 0, v4
	v_add_f32_e32 v4, v0, v5
	ds_read_b128 v[0:3], v16 offset:224
	v_add_f32_e32 v4, v4, v6
	v_add_f32_e32 v4, v4, v7
	global_store_dword v8, v4, s[0:1] offset:1024
	ds_read_b128 v[4:7], v16 offset:240
	s_waitcnt lgkmcnt(1)
	v_add_f32_e32 v0, 0, v0
	v_add_f32_e32 v0, v0, v1
	;; [unrolled: 1-line block ×4, first 2 shown]
	global_store_dword v8, v0, s[0:1] offset:2048
	s_waitcnt lgkmcnt(0)
	v_add_f32_e32 v0, 0, v4
	v_add_f32_e32 v4, v0, v5
	ds_read_b128 v[0:3], v16 offset:256
	v_add_f32_e32 v4, v4, v6
	v_add_f32_e32 v4, v4, v7
	global_store_dword v8, v4, s[0:1] offset:3072
	ds_read_b128 v[4:7], v16 offset:272
	s_waitcnt lgkmcnt(1)
	v_add_f32_e32 v0, 0, v0
	v_add_f32_e32 v0, v0, v1
	;; [unrolled: 1-line block ×4, first 2 shown]
	v_mov_b32_e32 v12, 0x4000
	global_store_dword v12, v0, s[0:1]
	ds_read_b128 v[0:3], v16 offset:288
	ds_read_b128 v[8:11], v16 offset:304
	s_waitcnt lgkmcnt(2)
	v_add_f32_e32 v4, 0, v4
	v_add_f32_e32 v4, v4, v5
	;; [unrolled: 1-line block ×3, first 2 shown]
	s_waitcnt lgkmcnt(1)
	v_add_f32_e32 v0, 0, v0
	v_add_f32_e32 v0, v0, v1
	;; [unrolled: 1-line block ×5, first 2 shown]
	global_store_dword v12, v0, s[0:1] offset:2048
	s_waitcnt lgkmcnt(0)
	v_add_f32_e32 v0, 0, v8
	global_store_dword v12, v4, s[0:1] offset:1024
	v_add_f32_e32 v4, v0, v9
	ds_read_b128 v[0:3], v16 offset:320
	v_add_f32_e32 v4, v4, v10
	v_add_f32_e32 v4, v4, v11
	global_store_dword v12, v4, s[0:1] offset:3072
	ds_read_b128 v[4:7], v16 offset:336
	s_waitcnt lgkmcnt(1)
	v_add_f32_e32 v0, 0, v0
	v_add_f32_e32 v0, v0, v1
	;; [unrolled: 1-line block ×4, first 2 shown]
	v_mov_b32_e32 v8, 0x5000
	global_store_dword v8, v0, s[0:1]
	s_waitcnt lgkmcnt(0)
	v_add_f32_e32 v0, 0, v4
	v_add_f32_e32 v4, v0, v5
	ds_read_b128 v[0:3], v16 offset:352
	v_add_f32_e32 v4, v4, v6
	v_add_f32_e32 v4, v4, v7
	global_store_dword v8, v4, s[0:1] offset:1024
	ds_read_b128 v[4:7], v16 offset:368
	s_waitcnt lgkmcnt(1)
	v_add_f32_e32 v0, 0, v0
	v_add_f32_e32 v0, v0, v1
	;; [unrolled: 1-line block ×4, first 2 shown]
	global_store_dword v8, v0, s[0:1] offset:2048
	ds_read_b128 v[0:3], v16 offset:384
	s_waitcnt lgkmcnt(1)
	v_add_f32_e32 v4, 0, v4
	v_add_f32_e32 v4, v4, v5
	;; [unrolled: 1-line block ×4, first 2 shown]
	s_waitcnt lgkmcnt(0)
	v_add_f32_e32 v0, 0, v0
	v_add_f32_e32 v0, v0, v1
	;; [unrolled: 1-line block ×4, first 2 shown]
	v_mov_b32_e32 v1, 0x6000
	global_store_dword v8, v4, s[0:1] offset:3072
	global_store_dword v1, v0, s[0:1]
.LBB24_54:
	s_endpgm
	.section	.rodata,"a",@progbits
	.p2align	6, 0x0
	.amdhsa_kernel _Z23fp32_router_gemm_kernelIfLi128ELi25ELi256ELi3072EEvPfPKT_PKf
		.amdhsa_group_segment_fixed_size 400
		.amdhsa_private_segment_fixed_size 0
		.amdhsa_kernarg_size 24
		.amdhsa_user_sgpr_count 6
		.amdhsa_user_sgpr_private_segment_buffer 1
		.amdhsa_user_sgpr_dispatch_ptr 0
		.amdhsa_user_sgpr_queue_ptr 0
		.amdhsa_user_sgpr_kernarg_segment_ptr 1
		.amdhsa_user_sgpr_dispatch_id 0
		.amdhsa_user_sgpr_flat_scratch_init 0
		.amdhsa_user_sgpr_kernarg_preload_length 0
		.amdhsa_user_sgpr_kernarg_preload_offset 0
		.amdhsa_user_sgpr_private_segment_size 0
		.amdhsa_uses_dynamic_stack 0
		.amdhsa_system_sgpr_private_segment_wavefront_offset 0
		.amdhsa_system_sgpr_workgroup_id_x 1
		.amdhsa_system_sgpr_workgroup_id_y 0
		.amdhsa_system_sgpr_workgroup_id_z 0
		.amdhsa_system_sgpr_workgroup_info 0
		.amdhsa_system_vgpr_workitem_id 0
		.amdhsa_next_free_vgpr 56
		.amdhsa_next_free_sgpr 34
		.amdhsa_accum_offset 56
		.amdhsa_reserve_vcc 1
		.amdhsa_reserve_flat_scratch 0
		.amdhsa_float_round_mode_32 0
		.amdhsa_float_round_mode_16_64 0
		.amdhsa_float_denorm_mode_32 3
		.amdhsa_float_denorm_mode_16_64 3
		.amdhsa_dx10_clamp 1
		.amdhsa_ieee_mode 1
		.amdhsa_fp16_overflow 0
		.amdhsa_tg_split 0
		.amdhsa_exception_fp_ieee_invalid_op 0
		.amdhsa_exception_fp_denorm_src 0
		.amdhsa_exception_fp_ieee_div_zero 0
		.amdhsa_exception_fp_ieee_overflow 0
		.amdhsa_exception_fp_ieee_underflow 0
		.amdhsa_exception_fp_ieee_inexact 0
		.amdhsa_exception_int_div_zero 0
	.end_amdhsa_kernel
	.section	.text._Z23fp32_router_gemm_kernelIfLi128ELi25ELi256ELi3072EEvPfPKT_PKf,"axG",@progbits,_Z23fp32_router_gemm_kernelIfLi128ELi25ELi256ELi3072EEvPfPKT_PKf,comdat
.Lfunc_end24:
	.size	_Z23fp32_router_gemm_kernelIfLi128ELi25ELi256ELi3072EEvPfPKT_PKf, .Lfunc_end24-_Z23fp32_router_gemm_kernelIfLi128ELi25ELi256ELi3072EEvPfPKT_PKf
                                        ; -- End function
	.section	.AMDGPU.csdata,"",@progbits
; Kernel info:
; codeLenInByte = 4988
; NumSgprs: 38
; NumVgprs: 56
; NumAgprs: 0
; TotalNumVgprs: 56
; ScratchSize: 0
; MemoryBound: 0
; FloatMode: 240
; IeeeMode: 1
; LDSByteSize: 400 bytes/workgroup (compile time only)
; SGPRBlocks: 4
; VGPRBlocks: 6
; NumSGPRsForWavesPerEU: 38
; NumVGPRsForWavesPerEU: 56
; AccumOffset: 56
; Occupancy: 8
; WaveLimiterHint : 1
; COMPUTE_PGM_RSRC2:SCRATCH_EN: 0
; COMPUTE_PGM_RSRC2:USER_SGPR: 6
; COMPUTE_PGM_RSRC2:TRAP_HANDLER: 0
; COMPUTE_PGM_RSRC2:TGID_X_EN: 1
; COMPUTE_PGM_RSRC2:TGID_Y_EN: 0
; COMPUTE_PGM_RSRC2:TGID_Z_EN: 0
; COMPUTE_PGM_RSRC2:TIDIG_COMP_CNT: 0
; COMPUTE_PGM_RSRC3_GFX90A:ACCUM_OFFSET: 13
; COMPUTE_PGM_RSRC3_GFX90A:TG_SPLIT: 0
	.section	.text._Z23fp32_router_gemm_kernelIfLi128ELi26ELi256ELi3072EEvPfPKT_PKf,"axG",@progbits,_Z23fp32_router_gemm_kernelIfLi128ELi26ELi256ELi3072EEvPfPKT_PKf,comdat
	.protected	_Z23fp32_router_gemm_kernelIfLi128ELi26ELi256ELi3072EEvPfPKT_PKf ; -- Begin function _Z23fp32_router_gemm_kernelIfLi128ELi26ELi256ELi3072EEvPfPKT_PKf
	.globl	_Z23fp32_router_gemm_kernelIfLi128ELi26ELi256ELi3072EEvPfPKT_PKf
	.p2align	8
	.type	_Z23fp32_router_gemm_kernelIfLi128ELi26ELi256ELi3072EEvPfPKT_PKf,@function
_Z23fp32_router_gemm_kernelIfLi128ELi26ELi256ELi3072EEvPfPKT_PKf: ; @_Z23fp32_router_gemm_kernelIfLi128ELi26ELi256ELi3072EEvPfPKT_PKf
; %bb.0:
	s_load_dwordx4 s[0:3], s[4:5], 0x0
	s_load_dwordx2 s[8:9], s[4:5], 0x10
	s_mul_i32 s4, s6, 0xc00
	s_ashr_i32 s5, s4, 31
	s_lshl_b64 s[4:5], s[4:5], 2
	v_lshlrev_b32_e32 v2, 2, v0
	s_waitcnt lgkmcnt(0)
	s_add_u32 s4, s8, s4
	v_or_b32_e32 v1, 0x200, v2
	v_or_b32_e32 v4, 0x400, v2
	;; [unrolled: 1-line block ×4, first 2 shown]
	s_addc_u32 s5, s9, s5
	s_mov_b64 s[8:9], 0
	v_mov_b32_e32 v40, 0
	v_mov_b32_e32 v41, s3
	s_movk_i32 s7, 0x3000
	s_movk_i32 s10, 0x6000
	s_mov_b32 s11, 0x9000
	s_mov_b32 s12, 0xc000
	;; [unrolled: 1-line block ×23, first 2 shown]
	v_mov_b32_e32 v39, 0
	v_mov_b32_e32 v38, 0
	;; [unrolled: 1-line block ×25, first 2 shown]
	v_or_b32_e32 v5, 0xa00, v2
.LBB25_1:                               ; =>This Inner Loop Header: Depth=1
	s_cmp_eq_u32 s8, 1
	s_cselect_b64 vcc, -1, 0
	s_cmp_eq_u32 s8, 2
	v_cndmask_b32_e32 v8, v2, v1, vcc
	s_cselect_b64 vcc, -1, 0
	s_cmp_eq_u32 s8, 3
	v_cndmask_b32_e32 v8, v8, v4, vcc
	;; [unrolled: 3-line block ×4, first 2 shown]
	s_cselect_b64 vcc, -1, 0
	v_cndmask_b32_e32 v8, v8, v5, vcc
	v_lshlrev_b32_e32 v54, 2, v8
	v_add_co_u32_e32 v55, vcc, s2, v54
	v_addc_co_u32_e32 v56, vcc, 0, v41, vcc
	v_add_co_u32_e32 v50, vcc, s7, v55
	v_addc_co_u32_e32 v51, vcc, 0, v56, vcc
	;; [unrolled: 2-line block ×3, first 2 shown]
	global_load_dwordx4 v[42:45], v[50:51], off
	global_load_dwordx4 v[46:49], v[52:53], off
	global_load_dwordx4 v[8:11], v54, s[4:5]
	global_load_dwordx4 v[12:15], v54, s[2:3]
	v_add_co_u32_e32 v50, vcc, s11, v55
	v_addc_co_u32_e32 v51, vcc, 0, v56, vcc
	v_add_co_u32_e32 v52, vcc, s12, v55
	v_addc_co_u32_e32 v53, vcc, 0, v56, vcc
	s_add_u32 s8, s8, 1
	s_addc_u32 s9, s9, 0
	s_cmp_eq_u32 s8, 6
	s_waitcnt vmcnt(1)
	v_fmac_f32_e32 v39, v42, v8
	v_fmac_f32_e32 v38, v46, v8
	;; [unrolled: 1-line block ×8, first 2 shown]
	global_load_dwordx4 v[42:45], v[50:51], off
	global_load_dwordx4 v[46:49], v[52:53], off
	v_add_co_u32_e32 v50, vcc, s13, v55
	v_addc_co_u32_e32 v51, vcc, 0, v56, vcc
	v_add_co_u32_e32 v52, vcc, s14, v55
	v_addc_co_u32_e32 v53, vcc, 0, v56, vcc
	s_waitcnt vmcnt(1)
	v_fmac_f32_e32 v37, v42, v8
	s_waitcnt vmcnt(0)
	v_fmac_f32_e32 v36, v46, v8
	v_fmac_f32_e32 v37, v43, v9
	v_fmac_f32_e32 v36, v47, v9
	v_fmac_f32_e32 v37, v44, v10
	v_fmac_f32_e32 v36, v48, v10
	v_fmac_f32_e32 v37, v45, v11
	v_fmac_f32_e32 v36, v49, v11
	global_load_dwordx4 v[42:45], v[50:51], off
	global_load_dwordx4 v[46:49], v[52:53], off
	v_add_co_u32_e32 v50, vcc, s15, v55
	v_addc_co_u32_e32 v51, vcc, 0, v56, vcc
	v_add_co_u32_e32 v52, vcc, s16, v55
	v_addc_co_u32_e32 v53, vcc, 0, v56, vcc
	s_waitcnt vmcnt(1)
	v_fmac_f32_e32 v35, v42, v8
	s_waitcnt vmcnt(0)
	v_fmac_f32_e32 v34, v46, v8
	v_fmac_f32_e32 v35, v43, v9
	v_fmac_f32_e32 v34, v47, v9
	v_fmac_f32_e32 v35, v44, v10
	v_fmac_f32_e32 v34, v48, v10
	v_fmac_f32_e32 v35, v45, v11
	v_fmac_f32_e32 v34, v49, v11
	;; [unrolled: 16-line block ×10, first 2 shown]
	global_load_dwordx4 v[42:45], v[50:51], off
	global_load_dwordx4 v[46:49], v[52:53], off
	s_waitcnt vmcnt(1)
	v_fmac_f32_e32 v17, v42, v8
	v_fmac_f32_e32 v17, v43, v9
	v_add_co_u32_e32 v42, vcc, s34, v55
	v_fmac_f32_e32 v17, v44, v10
	v_addc_co_u32_e32 v43, vcc, 0, v56, vcc
	v_fmac_f32_e32 v17, v45, v11
	global_load_dwordx4 v[42:45], v[42:43], off
	s_waitcnt vmcnt(1)
	v_fmac_f32_e32 v16, v46, v8
	v_fmac_f32_e32 v16, v47, v9
	;; [unrolled: 1-line block ×4, first 2 shown]
	s_waitcnt vmcnt(0)
	v_fmac_f32_e32 v7, v42, v8
	v_fmac_f32_e32 v7, v43, v9
	v_pk_mul_f32 v[8:9], v[12:13], v[8:9]
	v_fmac_f32_e32 v7, v44, v10
	v_add_f32_e32 v8, v8, v40
	v_fmac_f32_e32 v7, v45, v11
	v_pk_mul_f32 v[10:11], v[14:15], v[10:11]
	v_add_f32_e32 v8, v9, v8
	v_add_f32_e32 v8, v10, v8
	;; [unrolled: 1-line block ×3, first 2 shown]
	s_cbranch_scc0 .LBB25_1
; %bb.2:
	v_mbcnt_lo_u32_b32 v1, -1, 0
	v_mbcnt_hi_u32_b32 v5, -1, v1
	v_and_b32_e32 v2, 64, v5
	v_xor_b32_e32 v1, 16, v5
	v_add_u32_e32 v6, 64, v2
	v_cmp_lt_i32_e32 vcc, v1, v6
	v_cndmask_b32_e32 v1, v5, v1, vcc
	v_lshlrev_b32_e32 v1, 2, v1
	ds_bpermute_b32 v3, v1, v40
	v_xor_b32_e32 v2, 8, v5
	v_cmp_lt_i32_e32 vcc, v2, v6
	v_cndmask_b32_e32 v2, v5, v2, vcc
	v_lshlrev_b32_e32 v2, 2, v2
	s_waitcnt lgkmcnt(0)
	v_add_f32_e32 v4, v40, v3
	ds_bpermute_b32 v8, v2, v4
	v_xor_b32_e32 v3, 4, v5
	v_cmp_lt_i32_e32 vcc, v3, v6
	v_cndmask_b32_e32 v3, v5, v3, vcc
	v_lshlrev_b32_e32 v3, 2, v3
	s_waitcnt lgkmcnt(0)
	v_add_f32_e32 v8, v4, v8
	;; [unrolled: 7-line block ×4, first 2 shown]
	ds_bpermute_b32 v9, v6, v8
	v_lshrrev_b32_e32 v5, 5, v0
	v_and_b32_e32 v10, 31, v0
	v_cmp_eq_u32_e32 vcc, 0, v10
	v_lshlrev_b32_e32 v5, 2, v5
	s_and_saveexec_b64 s[2:3], vcc
	s_cbranch_execz .LBB25_4
; %bb.3:
	s_waitcnt lgkmcnt(0)
	v_add_f32_e32 v8, v8, v9
	ds_write_b32 v5, v8
.LBB25_4:
	s_or_b64 exec, exec, s[2:3]
	ds_bpermute_b32 v8, v1, v39
	s_waitcnt lgkmcnt(0)
	v_add_f32_e32 v8, v39, v8
	ds_bpermute_b32 v9, v2, v8
	s_waitcnt lgkmcnt(0)
	v_add_f32_e32 v8, v8, v9
	ds_bpermute_b32 v9, v3, v8
	s_waitcnt lgkmcnt(0)
	v_add_f32_e32 v8, v8, v9
	ds_bpermute_b32 v9, v4, v8
	s_waitcnt lgkmcnt(0)
	v_add_f32_e32 v8, v8, v9
	ds_bpermute_b32 v9, v6, v8
	s_and_saveexec_b64 s[2:3], vcc
	s_cbranch_execz .LBB25_6
; %bb.5:
	s_waitcnt lgkmcnt(0)
	v_add_f32_e32 v8, v8, v9
	ds_write_b32 v5, v8 offset:16
.LBB25_6:
	s_or_b64 exec, exec, s[2:3]
	ds_bpermute_b32 v8, v1, v38
	s_waitcnt lgkmcnt(0)
	v_add_f32_e32 v8, v38, v8
	ds_bpermute_b32 v9, v2, v8
	s_waitcnt lgkmcnt(0)
	v_add_f32_e32 v8, v8, v9
	ds_bpermute_b32 v9, v3, v8
	s_waitcnt lgkmcnt(0)
	v_add_f32_e32 v8, v8, v9
	ds_bpermute_b32 v9, v4, v8
	s_waitcnt lgkmcnt(0)
	v_add_f32_e32 v8, v8, v9
	ds_bpermute_b32 v9, v6, v8
	s_and_saveexec_b64 s[2:3], vcc
	s_cbranch_execz .LBB25_8
; %bb.7:
	s_waitcnt lgkmcnt(0)
	v_add_f32_e32 v8, v8, v9
	ds_write_b32 v5, v8 offset:32
.LBB25_8:
	;; [unrolled: 21-line block ×25, first 2 shown]
	s_or_b64 exec, exec, s[2:3]
	v_cmp_eq_u32_e32 vcc, 0, v0
	s_waitcnt lgkmcnt(0)
	s_barrier
	s_and_saveexec_b64 s[2:3], vcc
	s_cbranch_execz .LBB25_56
; %bb.55:
	v_mov_b32_e32 v16, 0
	ds_read_b128 v[0:3], v16
	s_ashr_i32 s7, s6, 31
	ds_read_b128 v[4:7], v16 offset:16
	ds_read_b128 v[8:11], v16 offset:32
	;; [unrolled: 1-line block ×3, first 2 shown]
	s_lshl_b64 s[2:3], s[6:7], 2
	s_add_u32 s0, s0, s2
	s_waitcnt lgkmcnt(3)
	v_add_f32_e32 v0, 0, v0
	v_add_f32_e32 v0, v0, v1
	;; [unrolled: 1-line block ×4, first 2 shown]
	s_addc_u32 s1, s1, s3
	global_store_dword v16, v0, s[0:1]
	s_waitcnt lgkmcnt(2)
	v_add_f32_e32 v0, 0, v4
	v_add_f32_e32 v0, v0, v5
	;; [unrolled: 1-line block ×4, first 2 shown]
	global_store_dword v16, v0, s[0:1] offset:1024
	s_waitcnt lgkmcnt(1)
	v_add_f32_e32 v0, 0, v8
	v_add_f32_e32 v0, v0, v9
	;; [unrolled: 1-line block ×4, first 2 shown]
	global_store_dword v16, v0, s[0:1] offset:2048
	s_waitcnt lgkmcnt(0)
	v_add_f32_e32 v0, 0, v12
	v_add_f32_e32 v4, v0, v13
	ds_read_b128 v[0:3], v16 offset:64
	v_add_f32_e32 v4, v4, v14
	v_add_f32_e32 v4, v4, v15
	global_store_dword v16, v4, s[0:1] offset:3072
	ds_read_b128 v[4:7], v16 offset:80
	s_waitcnt lgkmcnt(1)
	v_add_f32_e32 v0, 0, v0
	v_add_f32_e32 v0, v0, v1
	;; [unrolled: 1-line block ×4, first 2 shown]
	v_mov_b32_e32 v8, 0x1000
	global_store_dword v8, v0, s[0:1]
	s_waitcnt lgkmcnt(0)
	v_add_f32_e32 v0, 0, v4
	v_add_f32_e32 v4, v0, v5
	ds_read_b128 v[0:3], v16 offset:96
	v_add_f32_e32 v4, v4, v6
	v_add_f32_e32 v4, v4, v7
	global_store_dword v8, v4, s[0:1] offset:1024
	ds_read_b128 v[4:7], v16 offset:112
	s_waitcnt lgkmcnt(1)
	v_add_f32_e32 v0, 0, v0
	v_add_f32_e32 v0, v0, v1
	;; [unrolled: 1-line block ×4, first 2 shown]
	global_store_dword v8, v0, s[0:1] offset:2048
	s_waitcnt lgkmcnt(0)
	v_add_f32_e32 v0, 0, v4
	v_add_f32_e32 v4, v0, v5
	ds_read_b128 v[0:3], v16 offset:128
	v_add_f32_e32 v4, v4, v6
	v_add_f32_e32 v4, v4, v7
	global_store_dword v8, v4, s[0:1] offset:3072
	ds_read_b128 v[4:7], v16 offset:144
	s_waitcnt lgkmcnt(1)
	v_add_f32_e32 v0, 0, v0
	v_add_f32_e32 v0, v0, v1
	;; [unrolled: 1-line block ×4, first 2 shown]
	v_mov_b32_e32 v12, 0x2000
	global_store_dword v12, v0, s[0:1]
	ds_read_b128 v[0:3], v16 offset:160
	ds_read_b128 v[8:11], v16 offset:176
	s_waitcnt lgkmcnt(2)
	v_add_f32_e32 v4, 0, v4
	v_add_f32_e32 v4, v4, v5
	;; [unrolled: 1-line block ×3, first 2 shown]
	s_waitcnt lgkmcnt(1)
	v_add_f32_e32 v0, 0, v0
	v_add_f32_e32 v0, v0, v1
	;; [unrolled: 1-line block ×5, first 2 shown]
	global_store_dword v12, v0, s[0:1] offset:2048
	s_waitcnt lgkmcnt(0)
	v_add_f32_e32 v0, 0, v8
	global_store_dword v12, v4, s[0:1] offset:1024
	v_add_f32_e32 v4, v0, v9
	ds_read_b128 v[0:3], v16 offset:192
	v_add_f32_e32 v4, v4, v10
	v_add_f32_e32 v4, v4, v11
	global_store_dword v12, v4, s[0:1] offset:3072
	ds_read_b128 v[4:7], v16 offset:208
	s_waitcnt lgkmcnt(1)
	v_add_f32_e32 v0, 0, v0
	v_add_f32_e32 v0, v0, v1
	;; [unrolled: 1-line block ×4, first 2 shown]
	v_mov_b32_e32 v8, 0x3000
	global_store_dword v8, v0, s[0:1]
	s_waitcnt lgkmcnt(0)
	v_add_f32_e32 v0, 0, v4
	v_add_f32_e32 v4, v0, v5
	ds_read_b128 v[0:3], v16 offset:224
	v_add_f32_e32 v4, v4, v6
	v_add_f32_e32 v4, v4, v7
	global_store_dword v8, v4, s[0:1] offset:1024
	ds_read_b128 v[4:7], v16 offset:240
	s_waitcnt lgkmcnt(1)
	v_add_f32_e32 v0, 0, v0
	v_add_f32_e32 v0, v0, v1
	;; [unrolled: 1-line block ×4, first 2 shown]
	global_store_dword v8, v0, s[0:1] offset:2048
	s_waitcnt lgkmcnt(0)
	v_add_f32_e32 v0, 0, v4
	v_add_f32_e32 v4, v0, v5
	ds_read_b128 v[0:3], v16 offset:256
	v_add_f32_e32 v4, v4, v6
	v_add_f32_e32 v4, v4, v7
	global_store_dword v8, v4, s[0:1] offset:3072
	ds_read_b128 v[4:7], v16 offset:272
	s_waitcnt lgkmcnt(1)
	v_add_f32_e32 v0, 0, v0
	v_add_f32_e32 v0, v0, v1
	;; [unrolled: 1-line block ×4, first 2 shown]
	v_mov_b32_e32 v12, 0x4000
	global_store_dword v12, v0, s[0:1]
	ds_read_b128 v[0:3], v16 offset:288
	ds_read_b128 v[8:11], v16 offset:304
	s_waitcnt lgkmcnt(2)
	v_add_f32_e32 v4, 0, v4
	v_add_f32_e32 v4, v4, v5
	;; [unrolled: 1-line block ×3, first 2 shown]
	s_waitcnt lgkmcnt(1)
	v_add_f32_e32 v0, 0, v0
	v_add_f32_e32 v0, v0, v1
	;; [unrolled: 1-line block ×5, first 2 shown]
	global_store_dword v12, v0, s[0:1] offset:2048
	s_waitcnt lgkmcnt(0)
	v_add_f32_e32 v0, 0, v8
	global_store_dword v12, v4, s[0:1] offset:1024
	v_add_f32_e32 v4, v0, v9
	ds_read_b128 v[0:3], v16 offset:320
	v_add_f32_e32 v4, v4, v10
	v_add_f32_e32 v4, v4, v11
	global_store_dword v12, v4, s[0:1] offset:3072
	ds_read_b128 v[4:7], v16 offset:336
	s_waitcnt lgkmcnt(1)
	v_add_f32_e32 v0, 0, v0
	v_add_f32_e32 v0, v0, v1
	;; [unrolled: 1-line block ×4, first 2 shown]
	v_mov_b32_e32 v8, 0x5000
	global_store_dword v8, v0, s[0:1]
	s_waitcnt lgkmcnt(0)
	v_add_f32_e32 v0, 0, v4
	v_add_f32_e32 v4, v0, v5
	ds_read_b128 v[0:3], v16 offset:352
	v_add_f32_e32 v4, v4, v6
	v_add_f32_e32 v4, v4, v7
	global_store_dword v8, v4, s[0:1] offset:1024
	ds_read_b128 v[4:7], v16 offset:368
	s_waitcnt lgkmcnt(1)
	v_add_f32_e32 v0, 0, v0
	v_add_f32_e32 v0, v0, v1
	;; [unrolled: 1-line block ×4, first 2 shown]
	global_store_dword v8, v0, s[0:1] offset:2048
	s_waitcnt lgkmcnt(0)
	v_add_f32_e32 v0, 0, v4
	v_add_f32_e32 v4, v0, v5
	ds_read_b128 v[0:3], v16 offset:384
	v_add_f32_e32 v4, v4, v6
	v_add_f32_e32 v4, v4, v7
	global_store_dword v8, v4, s[0:1] offset:3072
	ds_read_b128 v[4:7], v16 offset:400
	s_waitcnt lgkmcnt(1)
	v_add_f32_e32 v0, 0, v0
	v_add_f32_e32 v0, v0, v1
	;; [unrolled: 1-line block ×4, first 2 shown]
	v_mov_b32_e32 v1, 0x6000
	global_store_dword v1, v0, s[0:1]
	s_waitcnt lgkmcnt(0)
	v_add_f32_e32 v0, 0, v4
	v_add_f32_e32 v0, v0, v5
	;; [unrolled: 1-line block ×4, first 2 shown]
	global_store_dword v1, v0, s[0:1] offset:1024
.LBB25_56:
	s_endpgm
	.section	.rodata,"a",@progbits
	.p2align	6, 0x0
	.amdhsa_kernel _Z23fp32_router_gemm_kernelIfLi128ELi26ELi256ELi3072EEvPfPKT_PKf
		.amdhsa_group_segment_fixed_size 416
		.amdhsa_private_segment_fixed_size 0
		.amdhsa_kernarg_size 24
		.amdhsa_user_sgpr_count 6
		.amdhsa_user_sgpr_private_segment_buffer 1
		.amdhsa_user_sgpr_dispatch_ptr 0
		.amdhsa_user_sgpr_queue_ptr 0
		.amdhsa_user_sgpr_kernarg_segment_ptr 1
		.amdhsa_user_sgpr_dispatch_id 0
		.amdhsa_user_sgpr_flat_scratch_init 0
		.amdhsa_user_sgpr_kernarg_preload_length 0
		.amdhsa_user_sgpr_kernarg_preload_offset 0
		.amdhsa_user_sgpr_private_segment_size 0
		.amdhsa_uses_dynamic_stack 0
		.amdhsa_system_sgpr_private_segment_wavefront_offset 0
		.amdhsa_system_sgpr_workgroup_id_x 1
		.amdhsa_system_sgpr_workgroup_id_y 0
		.amdhsa_system_sgpr_workgroup_id_z 0
		.amdhsa_system_sgpr_workgroup_info 0
		.amdhsa_system_vgpr_workitem_id 0
		.amdhsa_next_free_vgpr 57
		.amdhsa_next_free_sgpr 35
		.amdhsa_accum_offset 60
		.amdhsa_reserve_vcc 1
		.amdhsa_reserve_flat_scratch 0
		.amdhsa_float_round_mode_32 0
		.amdhsa_float_round_mode_16_64 0
		.amdhsa_float_denorm_mode_32 3
		.amdhsa_float_denorm_mode_16_64 3
		.amdhsa_dx10_clamp 1
		.amdhsa_ieee_mode 1
		.amdhsa_fp16_overflow 0
		.amdhsa_tg_split 0
		.amdhsa_exception_fp_ieee_invalid_op 0
		.amdhsa_exception_fp_denorm_src 0
		.amdhsa_exception_fp_ieee_div_zero 0
		.amdhsa_exception_fp_ieee_overflow 0
		.amdhsa_exception_fp_ieee_underflow 0
		.amdhsa_exception_fp_ieee_inexact 0
		.amdhsa_exception_int_div_zero 0
	.end_amdhsa_kernel
	.section	.text._Z23fp32_router_gemm_kernelIfLi128ELi26ELi256ELi3072EEvPfPKT_PKf,"axG",@progbits,_Z23fp32_router_gemm_kernelIfLi128ELi26ELi256ELi3072EEvPfPKT_PKf,comdat
.Lfunc_end25:
	.size	_Z23fp32_router_gemm_kernelIfLi128ELi26ELi256ELi3072EEvPfPKT_PKf, .Lfunc_end25-_Z23fp32_router_gemm_kernelIfLi128ELi26ELi256ELi3072EEvPfPKT_PKf
                                        ; -- End function
	.section	.AMDGPU.csdata,"",@progbits
; Kernel info:
; codeLenInByte = 5172
; NumSgprs: 39
; NumVgprs: 57
; NumAgprs: 0
; TotalNumVgprs: 57
; ScratchSize: 0
; MemoryBound: 0
; FloatMode: 240
; IeeeMode: 1
; LDSByteSize: 416 bytes/workgroup (compile time only)
; SGPRBlocks: 4
; VGPRBlocks: 7
; NumSGPRsForWavesPerEU: 39
; NumVGPRsForWavesPerEU: 57
; AccumOffset: 60
; Occupancy: 8
; WaveLimiterHint : 1
; COMPUTE_PGM_RSRC2:SCRATCH_EN: 0
; COMPUTE_PGM_RSRC2:USER_SGPR: 6
; COMPUTE_PGM_RSRC2:TRAP_HANDLER: 0
; COMPUTE_PGM_RSRC2:TGID_X_EN: 1
; COMPUTE_PGM_RSRC2:TGID_Y_EN: 0
; COMPUTE_PGM_RSRC2:TGID_Z_EN: 0
; COMPUTE_PGM_RSRC2:TIDIG_COMP_CNT: 0
; COMPUTE_PGM_RSRC3_GFX90A:ACCUM_OFFSET: 14
; COMPUTE_PGM_RSRC3_GFX90A:TG_SPLIT: 0
	.section	.text._Z23fp32_router_gemm_kernelIfLi128ELi27ELi256ELi3072EEvPfPKT_PKf,"axG",@progbits,_Z23fp32_router_gemm_kernelIfLi128ELi27ELi256ELi3072EEvPfPKT_PKf,comdat
	.protected	_Z23fp32_router_gemm_kernelIfLi128ELi27ELi256ELi3072EEvPfPKT_PKf ; -- Begin function _Z23fp32_router_gemm_kernelIfLi128ELi27ELi256ELi3072EEvPfPKT_PKf
	.globl	_Z23fp32_router_gemm_kernelIfLi128ELi27ELi256ELi3072EEvPfPKT_PKf
	.p2align	8
	.type	_Z23fp32_router_gemm_kernelIfLi128ELi27ELi256ELi3072EEvPfPKT_PKf,@function
_Z23fp32_router_gemm_kernelIfLi128ELi27ELi256ELi3072EEvPfPKT_PKf: ; @_Z23fp32_router_gemm_kernelIfLi128ELi27ELi256ELi3072EEvPfPKT_PKf
; %bb.0:
	s_load_dwordx4 s[0:3], s[4:5], 0x0
	s_load_dwordx2 s[8:9], s[4:5], 0x10
	s_mul_i32 s4, s6, 0xc00
	s_ashr_i32 s5, s4, 31
	s_lshl_b64 s[4:5], s[4:5], 2
	v_lshlrev_b32_e32 v2, 2, v0
	s_waitcnt lgkmcnt(0)
	s_add_u32 s4, s8, s4
	v_or_b32_e32 v1, 0x200, v2
	v_or_b32_e32 v4, 0x400, v2
	;; [unrolled: 1-line block ×4, first 2 shown]
	s_addc_u32 s5, s9, s5
	s_mov_b64 s[8:9], 0
	v_mov_b32_e32 v41, 0
	v_mov_b32_e32 v42, s3
	s_movk_i32 s7, 0x3000
	s_movk_i32 s10, 0x6000
	s_mov_b32 s11, 0x9000
	s_mov_b32 s12, 0xc000
	;; [unrolled: 1-line block ×24, first 2 shown]
	v_mov_b32_e32 v40, 0
	v_mov_b32_e32 v39, 0
	;; [unrolled: 1-line block ×26, first 2 shown]
	v_or_b32_e32 v5, 0xa00, v2
.LBB26_1:                               ; =>This Inner Loop Header: Depth=1
	s_cmp_eq_u32 s8, 1
	s_cselect_b64 vcc, -1, 0
	s_cmp_eq_u32 s8, 2
	v_cndmask_b32_e32 v8, v2, v1, vcc
	s_cselect_b64 vcc, -1, 0
	s_cmp_eq_u32 s8, 3
	v_cndmask_b32_e32 v8, v8, v4, vcc
	;; [unrolled: 3-line block ×4, first 2 shown]
	s_cselect_b64 vcc, -1, 0
	v_cndmask_b32_e32 v8, v8, v5, vcc
	v_lshlrev_b32_e32 v43, 2, v8
	v_add_co_u32_e32 v56, vcc, s2, v43
	v_addc_co_u32_e32 v57, vcc, 0, v42, vcc
	v_add_co_u32_e32 v52, vcc, s7, v56
	v_addc_co_u32_e32 v53, vcc, 0, v57, vcc
	;; [unrolled: 2-line block ×3, first 2 shown]
	global_load_dwordx4 v[44:47], v[52:53], off
	global_load_dwordx4 v[48:51], v[54:55], off
	global_load_dwordx4 v[8:11], v43, s[4:5]
	global_load_dwordx4 v[12:15], v43, s[2:3]
	v_add_co_u32_e32 v52, vcc, s11, v56
	v_addc_co_u32_e32 v53, vcc, 0, v57, vcc
	v_add_co_u32_e32 v54, vcc, s12, v56
	v_addc_co_u32_e32 v55, vcc, 0, v57, vcc
	s_add_u32 s8, s8, 1
	s_addc_u32 s9, s9, 0
	s_cmp_eq_u32 s8, 6
	s_waitcnt vmcnt(1)
	v_fmac_f32_e32 v40, v44, v8
	v_fmac_f32_e32 v39, v48, v8
	;; [unrolled: 1-line block ×8, first 2 shown]
	global_load_dwordx4 v[44:47], v[52:53], off
	global_load_dwordx4 v[48:51], v[54:55], off
	v_add_co_u32_e32 v52, vcc, s13, v56
	v_addc_co_u32_e32 v53, vcc, 0, v57, vcc
	v_add_co_u32_e32 v54, vcc, s14, v56
	v_addc_co_u32_e32 v55, vcc, 0, v57, vcc
	s_waitcnt vmcnt(1)
	v_fmac_f32_e32 v38, v44, v8
	s_waitcnt vmcnt(0)
	v_fmac_f32_e32 v37, v48, v8
	v_fmac_f32_e32 v38, v45, v9
	v_fmac_f32_e32 v37, v49, v9
	v_fmac_f32_e32 v38, v46, v10
	v_fmac_f32_e32 v37, v50, v10
	v_fmac_f32_e32 v38, v47, v11
	v_fmac_f32_e32 v37, v51, v11
	global_load_dwordx4 v[44:47], v[52:53], off
	global_load_dwordx4 v[48:51], v[54:55], off
	v_add_co_u32_e32 v52, vcc, s15, v56
	v_addc_co_u32_e32 v53, vcc, 0, v57, vcc
	v_add_co_u32_e32 v54, vcc, s16, v56
	v_addc_co_u32_e32 v55, vcc, 0, v57, vcc
	s_waitcnt vmcnt(1)
	v_fmac_f32_e32 v36, v44, v8
	s_waitcnt vmcnt(0)
	v_fmac_f32_e32 v35, v48, v8
	v_fmac_f32_e32 v36, v45, v9
	v_fmac_f32_e32 v35, v49, v9
	v_fmac_f32_e32 v36, v46, v10
	v_fmac_f32_e32 v35, v50, v10
	v_fmac_f32_e32 v36, v47, v11
	v_fmac_f32_e32 v35, v51, v11
	;; [unrolled: 16-line block ×11, first 2 shown]
	global_load_dwordx4 v[44:47], v[52:53], off
	global_load_dwordx4 v[48:51], v[54:55], off
	s_waitcnt vmcnt(1)
	v_fmac_f32_e32 v16, v44, v8
	s_waitcnt vmcnt(0)
	v_fmac_f32_e32 v7, v48, v8
	v_fmac_f32_e32 v16, v45, v9
	v_fmac_f32_e32 v7, v49, v9
	v_pk_mul_f32 v[8:9], v[12:13], v[8:9]
	v_fmac_f32_e32 v16, v46, v10
	v_fmac_f32_e32 v7, v50, v10
	v_add_f32_e32 v8, v8, v41
	v_fmac_f32_e32 v16, v47, v11
	v_fmac_f32_e32 v7, v51, v11
	v_pk_mul_f32 v[10:11], v[14:15], v[10:11]
	v_add_f32_e32 v8, v9, v8
	v_add_f32_e32 v8, v10, v8
	;; [unrolled: 1-line block ×3, first 2 shown]
	s_cbranch_scc0 .LBB26_1
; %bb.2:
	v_mbcnt_lo_u32_b32 v1, -1, 0
	v_mbcnt_hi_u32_b32 v5, -1, v1
	v_and_b32_e32 v2, 64, v5
	v_xor_b32_e32 v1, 16, v5
	v_add_u32_e32 v6, 64, v2
	v_cmp_lt_i32_e32 vcc, v1, v6
	v_cndmask_b32_e32 v1, v5, v1, vcc
	v_lshlrev_b32_e32 v1, 2, v1
	ds_bpermute_b32 v3, v1, v41
	v_xor_b32_e32 v2, 8, v5
	v_cmp_lt_i32_e32 vcc, v2, v6
	v_cndmask_b32_e32 v2, v5, v2, vcc
	v_lshlrev_b32_e32 v2, 2, v2
	s_waitcnt lgkmcnt(0)
	v_add_f32_e32 v4, v41, v3
	ds_bpermute_b32 v8, v2, v4
	v_xor_b32_e32 v3, 4, v5
	v_cmp_lt_i32_e32 vcc, v3, v6
	v_cndmask_b32_e32 v3, v5, v3, vcc
	v_lshlrev_b32_e32 v3, 2, v3
	s_waitcnt lgkmcnt(0)
	v_add_f32_e32 v8, v4, v8
	;; [unrolled: 7-line block ×4, first 2 shown]
	ds_bpermute_b32 v9, v6, v8
	v_lshrrev_b32_e32 v5, 5, v0
	v_and_b32_e32 v10, 31, v0
	v_cmp_eq_u32_e32 vcc, 0, v10
	v_lshlrev_b32_e32 v5, 2, v5
	s_and_saveexec_b64 s[2:3], vcc
	s_cbranch_execz .LBB26_4
; %bb.3:
	s_waitcnt lgkmcnt(0)
	v_add_f32_e32 v8, v8, v9
	ds_write_b32 v5, v8
.LBB26_4:
	s_or_b64 exec, exec, s[2:3]
	ds_bpermute_b32 v8, v1, v40
	s_waitcnt lgkmcnt(0)
	v_add_f32_e32 v8, v40, v8
	ds_bpermute_b32 v9, v2, v8
	s_waitcnt lgkmcnt(0)
	v_add_f32_e32 v8, v8, v9
	ds_bpermute_b32 v9, v3, v8
	s_waitcnt lgkmcnt(0)
	v_add_f32_e32 v8, v8, v9
	ds_bpermute_b32 v9, v4, v8
	s_waitcnt lgkmcnt(0)
	v_add_f32_e32 v8, v8, v9
	ds_bpermute_b32 v9, v6, v8
	s_and_saveexec_b64 s[2:3], vcc
	s_cbranch_execz .LBB26_6
; %bb.5:
	s_waitcnt lgkmcnt(0)
	v_add_f32_e32 v8, v8, v9
	ds_write_b32 v5, v8 offset:16
.LBB26_6:
	s_or_b64 exec, exec, s[2:3]
	ds_bpermute_b32 v8, v1, v39
	s_waitcnt lgkmcnt(0)
	v_add_f32_e32 v8, v39, v8
	ds_bpermute_b32 v9, v2, v8
	s_waitcnt lgkmcnt(0)
	v_add_f32_e32 v8, v8, v9
	ds_bpermute_b32 v9, v3, v8
	s_waitcnt lgkmcnt(0)
	v_add_f32_e32 v8, v8, v9
	ds_bpermute_b32 v9, v4, v8
	s_waitcnt lgkmcnt(0)
	v_add_f32_e32 v8, v8, v9
	ds_bpermute_b32 v9, v6, v8
	s_and_saveexec_b64 s[2:3], vcc
	s_cbranch_execz .LBB26_8
; %bb.7:
	s_waitcnt lgkmcnt(0)
	v_add_f32_e32 v8, v8, v9
	ds_write_b32 v5, v8 offset:32
.LBB26_8:
	;; [unrolled: 21-line block ×26, first 2 shown]
	s_or_b64 exec, exec, s[2:3]
	v_cmp_eq_u32_e32 vcc, 0, v0
	s_waitcnt lgkmcnt(0)
	s_barrier
	s_and_saveexec_b64 s[2:3], vcc
	s_cbranch_execz .LBB26_58
; %bb.57:
	v_mov_b32_e32 v16, 0
	ds_read_b128 v[0:3], v16
	s_ashr_i32 s7, s6, 31
	ds_read_b128 v[4:7], v16 offset:16
	ds_read_b128 v[8:11], v16 offset:32
	;; [unrolled: 1-line block ×3, first 2 shown]
	s_lshl_b64 s[2:3], s[6:7], 2
	s_add_u32 s0, s0, s2
	s_waitcnt lgkmcnt(3)
	v_add_f32_e32 v0, 0, v0
	v_add_f32_e32 v0, v0, v1
	;; [unrolled: 1-line block ×4, first 2 shown]
	s_addc_u32 s1, s1, s3
	global_store_dword v16, v0, s[0:1]
	s_waitcnt lgkmcnt(2)
	v_add_f32_e32 v0, 0, v4
	v_add_f32_e32 v0, v0, v5
	;; [unrolled: 1-line block ×4, first 2 shown]
	global_store_dword v16, v0, s[0:1] offset:1024
	s_waitcnt lgkmcnt(1)
	v_add_f32_e32 v0, 0, v8
	v_add_f32_e32 v0, v0, v9
	;; [unrolled: 1-line block ×4, first 2 shown]
	global_store_dword v16, v0, s[0:1] offset:2048
	s_waitcnt lgkmcnt(0)
	v_add_f32_e32 v0, 0, v12
	v_add_f32_e32 v4, v0, v13
	ds_read_b128 v[0:3], v16 offset:64
	v_add_f32_e32 v4, v4, v14
	v_add_f32_e32 v4, v4, v15
	global_store_dword v16, v4, s[0:1] offset:3072
	ds_read_b128 v[4:7], v16 offset:80
	s_waitcnt lgkmcnt(1)
	v_add_f32_e32 v0, 0, v0
	v_add_f32_e32 v0, v0, v1
	;; [unrolled: 1-line block ×4, first 2 shown]
	v_mov_b32_e32 v8, 0x1000
	global_store_dword v8, v0, s[0:1]
	s_waitcnt lgkmcnt(0)
	v_add_f32_e32 v0, 0, v4
	v_add_f32_e32 v4, v0, v5
	ds_read_b128 v[0:3], v16 offset:96
	v_add_f32_e32 v4, v4, v6
	v_add_f32_e32 v4, v4, v7
	global_store_dword v8, v4, s[0:1] offset:1024
	ds_read_b128 v[4:7], v16 offset:112
	s_waitcnt lgkmcnt(1)
	v_add_f32_e32 v0, 0, v0
	v_add_f32_e32 v0, v0, v1
	;; [unrolled: 1-line block ×4, first 2 shown]
	global_store_dword v8, v0, s[0:1] offset:2048
	s_waitcnt lgkmcnt(0)
	v_add_f32_e32 v0, 0, v4
	v_add_f32_e32 v4, v0, v5
	ds_read_b128 v[0:3], v16 offset:128
	v_add_f32_e32 v4, v4, v6
	v_add_f32_e32 v4, v4, v7
	global_store_dword v8, v4, s[0:1] offset:3072
	ds_read_b128 v[4:7], v16 offset:144
	s_waitcnt lgkmcnt(1)
	v_add_f32_e32 v0, 0, v0
	v_add_f32_e32 v0, v0, v1
	;; [unrolled: 1-line block ×4, first 2 shown]
	v_mov_b32_e32 v12, 0x2000
	global_store_dword v12, v0, s[0:1]
	ds_read_b128 v[0:3], v16 offset:160
	ds_read_b128 v[8:11], v16 offset:176
	s_waitcnt lgkmcnt(2)
	v_add_f32_e32 v4, 0, v4
	v_add_f32_e32 v4, v4, v5
	;; [unrolled: 1-line block ×3, first 2 shown]
	s_waitcnt lgkmcnt(1)
	v_add_f32_e32 v0, 0, v0
	v_add_f32_e32 v0, v0, v1
	;; [unrolled: 1-line block ×5, first 2 shown]
	global_store_dword v12, v0, s[0:1] offset:2048
	s_waitcnt lgkmcnt(0)
	v_add_f32_e32 v0, 0, v8
	global_store_dword v12, v4, s[0:1] offset:1024
	v_add_f32_e32 v4, v0, v9
	ds_read_b128 v[0:3], v16 offset:192
	v_add_f32_e32 v4, v4, v10
	v_add_f32_e32 v4, v4, v11
	global_store_dword v12, v4, s[0:1] offset:3072
	ds_read_b128 v[4:7], v16 offset:208
	s_waitcnt lgkmcnt(1)
	v_add_f32_e32 v0, 0, v0
	v_add_f32_e32 v0, v0, v1
	;; [unrolled: 1-line block ×4, first 2 shown]
	v_mov_b32_e32 v8, 0x3000
	global_store_dword v8, v0, s[0:1]
	s_waitcnt lgkmcnt(0)
	v_add_f32_e32 v0, 0, v4
	v_add_f32_e32 v4, v0, v5
	ds_read_b128 v[0:3], v16 offset:224
	v_add_f32_e32 v4, v4, v6
	v_add_f32_e32 v4, v4, v7
	global_store_dword v8, v4, s[0:1] offset:1024
	ds_read_b128 v[4:7], v16 offset:240
	s_waitcnt lgkmcnt(1)
	v_add_f32_e32 v0, 0, v0
	v_add_f32_e32 v0, v0, v1
	;; [unrolled: 1-line block ×4, first 2 shown]
	global_store_dword v8, v0, s[0:1] offset:2048
	s_waitcnt lgkmcnt(0)
	v_add_f32_e32 v0, 0, v4
	v_add_f32_e32 v4, v0, v5
	ds_read_b128 v[0:3], v16 offset:256
	v_add_f32_e32 v4, v4, v6
	v_add_f32_e32 v4, v4, v7
	global_store_dword v8, v4, s[0:1] offset:3072
	ds_read_b128 v[4:7], v16 offset:272
	s_waitcnt lgkmcnt(1)
	v_add_f32_e32 v0, 0, v0
	v_add_f32_e32 v0, v0, v1
	;; [unrolled: 1-line block ×4, first 2 shown]
	v_mov_b32_e32 v12, 0x4000
	global_store_dword v12, v0, s[0:1]
	ds_read_b128 v[0:3], v16 offset:288
	ds_read_b128 v[8:11], v16 offset:304
	s_waitcnt lgkmcnt(2)
	v_add_f32_e32 v4, 0, v4
	v_add_f32_e32 v4, v4, v5
	;; [unrolled: 1-line block ×3, first 2 shown]
	s_waitcnt lgkmcnt(1)
	v_add_f32_e32 v0, 0, v0
	v_add_f32_e32 v0, v0, v1
	;; [unrolled: 1-line block ×5, first 2 shown]
	global_store_dword v12, v0, s[0:1] offset:2048
	s_waitcnt lgkmcnt(0)
	v_add_f32_e32 v0, 0, v8
	global_store_dword v12, v4, s[0:1] offset:1024
	v_add_f32_e32 v4, v0, v9
	ds_read_b128 v[0:3], v16 offset:320
	v_add_f32_e32 v4, v4, v10
	v_add_f32_e32 v4, v4, v11
	global_store_dword v12, v4, s[0:1] offset:3072
	ds_read_b128 v[4:7], v16 offset:336
	s_waitcnt lgkmcnt(1)
	v_add_f32_e32 v0, 0, v0
	v_add_f32_e32 v0, v0, v1
	;; [unrolled: 1-line block ×4, first 2 shown]
	v_mov_b32_e32 v8, 0x5000
	global_store_dword v8, v0, s[0:1]
	s_waitcnt lgkmcnt(0)
	v_add_f32_e32 v0, 0, v4
	v_add_f32_e32 v4, v0, v5
	ds_read_b128 v[0:3], v16 offset:352
	v_add_f32_e32 v4, v4, v6
	v_add_f32_e32 v4, v4, v7
	global_store_dword v8, v4, s[0:1] offset:1024
	ds_read_b128 v[4:7], v16 offset:368
	s_waitcnt lgkmcnt(1)
	v_add_f32_e32 v0, 0, v0
	v_add_f32_e32 v0, v0, v1
	;; [unrolled: 1-line block ×4, first 2 shown]
	global_store_dword v8, v0, s[0:1] offset:2048
	s_waitcnt lgkmcnt(0)
	v_add_f32_e32 v0, 0, v4
	v_add_f32_e32 v4, v0, v5
	ds_read_b128 v[0:3], v16 offset:384
	v_add_f32_e32 v4, v4, v6
	v_add_f32_e32 v4, v4, v7
	global_store_dword v8, v4, s[0:1] offset:3072
	ds_read_b128 v[4:7], v16 offset:400
	s_waitcnt lgkmcnt(1)
	v_add_f32_e32 v0, 0, v0
	v_add_f32_e32 v0, v0, v1
	;; [unrolled: 1-line block ×4, first 2 shown]
	v_mov_b32_e32 v8, 0x6000
	global_store_dword v8, v0, s[0:1]
	ds_read_b128 v[0:3], v16 offset:416
	s_waitcnt lgkmcnt(1)
	v_add_f32_e32 v4, 0, v4
	v_add_f32_e32 v4, v4, v5
	;; [unrolled: 1-line block ×4, first 2 shown]
	s_waitcnt lgkmcnt(0)
	v_add_f32_e32 v0, 0, v0
	v_add_f32_e32 v0, v0, v1
	;; [unrolled: 1-line block ×4, first 2 shown]
	global_store_dword v8, v4, s[0:1] offset:1024
	global_store_dword v8, v0, s[0:1] offset:2048
.LBB26_58:
	s_endpgm
	.section	.rodata,"a",@progbits
	.p2align	6, 0x0
	.amdhsa_kernel _Z23fp32_router_gemm_kernelIfLi128ELi27ELi256ELi3072EEvPfPKT_PKf
		.amdhsa_group_segment_fixed_size 432
		.amdhsa_private_segment_fixed_size 0
		.amdhsa_kernarg_size 24
		.amdhsa_user_sgpr_count 6
		.amdhsa_user_sgpr_private_segment_buffer 1
		.amdhsa_user_sgpr_dispatch_ptr 0
		.amdhsa_user_sgpr_queue_ptr 0
		.amdhsa_user_sgpr_kernarg_segment_ptr 1
		.amdhsa_user_sgpr_dispatch_id 0
		.amdhsa_user_sgpr_flat_scratch_init 0
		.amdhsa_user_sgpr_kernarg_preload_length 0
		.amdhsa_user_sgpr_kernarg_preload_offset 0
		.amdhsa_user_sgpr_private_segment_size 0
		.amdhsa_uses_dynamic_stack 0
		.amdhsa_system_sgpr_private_segment_wavefront_offset 0
		.amdhsa_system_sgpr_workgroup_id_x 1
		.amdhsa_system_sgpr_workgroup_id_y 0
		.amdhsa_system_sgpr_workgroup_id_z 0
		.amdhsa_system_sgpr_workgroup_info 0
		.amdhsa_system_vgpr_workitem_id 0
		.amdhsa_next_free_vgpr 58
		.amdhsa_next_free_sgpr 36
		.amdhsa_accum_offset 60
		.amdhsa_reserve_vcc 1
		.amdhsa_reserve_flat_scratch 0
		.amdhsa_float_round_mode_32 0
		.amdhsa_float_round_mode_16_64 0
		.amdhsa_float_denorm_mode_32 3
		.amdhsa_float_denorm_mode_16_64 3
		.amdhsa_dx10_clamp 1
		.amdhsa_ieee_mode 1
		.amdhsa_fp16_overflow 0
		.amdhsa_tg_split 0
		.amdhsa_exception_fp_ieee_invalid_op 0
		.amdhsa_exception_fp_denorm_src 0
		.amdhsa_exception_fp_ieee_div_zero 0
		.amdhsa_exception_fp_ieee_overflow 0
		.amdhsa_exception_fp_ieee_underflow 0
		.amdhsa_exception_fp_ieee_inexact 0
		.amdhsa_exception_int_div_zero 0
	.end_amdhsa_kernel
	.section	.text._Z23fp32_router_gemm_kernelIfLi128ELi27ELi256ELi3072EEvPfPKT_PKf,"axG",@progbits,_Z23fp32_router_gemm_kernelIfLi128ELi27ELi256ELi3072EEvPfPKT_PKf,comdat
.Lfunc_end26:
	.size	_Z23fp32_router_gemm_kernelIfLi128ELi27ELi256ELi3072EEvPfPKT_PKf, .Lfunc_end26-_Z23fp32_router_gemm_kernelIfLi128ELi27ELi256ELi3072EEvPfPKT_PKf
                                        ; -- End function
	.section	.AMDGPU.csdata,"",@progbits
; Kernel info:
; codeLenInByte = 5356
; NumSgprs: 40
; NumVgprs: 58
; NumAgprs: 0
; TotalNumVgprs: 58
; ScratchSize: 0
; MemoryBound: 0
; FloatMode: 240
; IeeeMode: 1
; LDSByteSize: 432 bytes/workgroup (compile time only)
; SGPRBlocks: 4
; VGPRBlocks: 7
; NumSGPRsForWavesPerEU: 40
; NumVGPRsForWavesPerEU: 58
; AccumOffset: 60
; Occupancy: 8
; WaveLimiterHint : 1
; COMPUTE_PGM_RSRC2:SCRATCH_EN: 0
; COMPUTE_PGM_RSRC2:USER_SGPR: 6
; COMPUTE_PGM_RSRC2:TRAP_HANDLER: 0
; COMPUTE_PGM_RSRC2:TGID_X_EN: 1
; COMPUTE_PGM_RSRC2:TGID_Y_EN: 0
; COMPUTE_PGM_RSRC2:TGID_Z_EN: 0
; COMPUTE_PGM_RSRC2:TIDIG_COMP_CNT: 0
; COMPUTE_PGM_RSRC3_GFX90A:ACCUM_OFFSET: 14
; COMPUTE_PGM_RSRC3_GFX90A:TG_SPLIT: 0
	.section	.text._Z23fp32_router_gemm_kernelIfLi128ELi28ELi256ELi3072EEvPfPKT_PKf,"axG",@progbits,_Z23fp32_router_gemm_kernelIfLi128ELi28ELi256ELi3072EEvPfPKT_PKf,comdat
	.protected	_Z23fp32_router_gemm_kernelIfLi128ELi28ELi256ELi3072EEvPfPKT_PKf ; -- Begin function _Z23fp32_router_gemm_kernelIfLi128ELi28ELi256ELi3072EEvPfPKT_PKf
	.globl	_Z23fp32_router_gemm_kernelIfLi128ELi28ELi256ELi3072EEvPfPKT_PKf
	.p2align	8
	.type	_Z23fp32_router_gemm_kernelIfLi128ELi28ELi256ELi3072EEvPfPKT_PKf,@function
_Z23fp32_router_gemm_kernelIfLi128ELi28ELi256ELi3072EEvPfPKT_PKf: ; @_Z23fp32_router_gemm_kernelIfLi128ELi28ELi256ELi3072EEvPfPKT_PKf
; %bb.0:
	s_load_dwordx4 s[0:3], s[4:5], 0x0
	s_load_dwordx2 s[8:9], s[4:5], 0x10
	s_mul_i32 s4, s6, 0xc00
	s_ashr_i32 s5, s4, 31
	s_lshl_b64 s[4:5], s[4:5], 2
	v_lshlrev_b32_e32 v2, 2, v0
	s_waitcnt lgkmcnt(0)
	s_add_u32 s4, s8, s4
	v_or_b32_e32 v1, 0x200, v2
	v_or_b32_e32 v4, 0x400, v2
	;; [unrolled: 1-line block ×4, first 2 shown]
	s_addc_u32 s5, s9, s5
	s_mov_b64 s[8:9], 0
	v_mov_b32_e32 v42, 0
	v_mov_b32_e32 v43, s3
	s_movk_i32 s7, 0x3000
	s_movk_i32 s10, 0x6000
	s_mov_b32 s11, 0x9000
	s_mov_b32 s12, 0xc000
	;; [unrolled: 1-line block ×25, first 2 shown]
	v_mov_b32_e32 v41, 0
	v_mov_b32_e32 v40, 0
	;; [unrolled: 1-line block ×27, first 2 shown]
	v_or_b32_e32 v5, 0xa00, v2
.LBB27_1:                               ; =>This Inner Loop Header: Depth=1
	s_cmp_eq_u32 s8, 1
	s_cselect_b64 vcc, -1, 0
	s_cmp_eq_u32 s8, 2
	v_cndmask_b32_e32 v8, v2, v1, vcc
	s_cselect_b64 vcc, -1, 0
	s_cmp_eq_u32 s8, 3
	v_cndmask_b32_e32 v8, v8, v4, vcc
	s_cselect_b64 vcc, -1, 0
	s_cmp_eq_u32 s8, 4
	v_cndmask_b32_e32 v8, v8, v3, vcc
	s_cselect_b64 vcc, -1, 0
	s_cmp_eq_u32 s8, 5
	v_cndmask_b32_e32 v8, v8, v6, vcc
	s_cselect_b64 vcc, -1, 0
	v_cndmask_b32_e32 v8, v8, v5, vcc
	v_lshlrev_b32_e32 v56, 2, v8
	v_add_co_u32_e32 v57, vcc, s2, v56
	v_addc_co_u32_e32 v58, vcc, 0, v43, vcc
	v_add_co_u32_e32 v52, vcc, s7, v57
	v_addc_co_u32_e32 v53, vcc, 0, v58, vcc
	;; [unrolled: 2-line block ×3, first 2 shown]
	global_load_dwordx4 v[44:47], v[52:53], off
	global_load_dwordx4 v[48:51], v[54:55], off
	global_load_dwordx4 v[8:11], v56, s[4:5]
	global_load_dwordx4 v[12:15], v56, s[2:3]
	v_add_co_u32_e32 v52, vcc, s11, v57
	v_addc_co_u32_e32 v53, vcc, 0, v58, vcc
	v_add_co_u32_e32 v54, vcc, s12, v57
	v_addc_co_u32_e32 v55, vcc, 0, v58, vcc
	s_add_u32 s8, s8, 1
	s_addc_u32 s9, s9, 0
	s_cmp_eq_u32 s8, 6
	s_waitcnt vmcnt(1)
	v_fmac_f32_e32 v41, v44, v8
	v_fmac_f32_e32 v40, v48, v8
	;; [unrolled: 1-line block ×8, first 2 shown]
	global_load_dwordx4 v[44:47], v[52:53], off
	global_load_dwordx4 v[48:51], v[54:55], off
	v_add_co_u32_e32 v52, vcc, s13, v57
	v_addc_co_u32_e32 v53, vcc, 0, v58, vcc
	v_add_co_u32_e32 v54, vcc, s14, v57
	v_addc_co_u32_e32 v55, vcc, 0, v58, vcc
	s_waitcnt vmcnt(1)
	v_fmac_f32_e32 v39, v44, v8
	s_waitcnt vmcnt(0)
	v_fmac_f32_e32 v38, v48, v8
	v_fmac_f32_e32 v39, v45, v9
	v_fmac_f32_e32 v38, v49, v9
	v_fmac_f32_e32 v39, v46, v10
	v_fmac_f32_e32 v38, v50, v10
	v_fmac_f32_e32 v39, v47, v11
	v_fmac_f32_e32 v38, v51, v11
	global_load_dwordx4 v[44:47], v[52:53], off
	global_load_dwordx4 v[48:51], v[54:55], off
	v_add_co_u32_e32 v52, vcc, s15, v57
	v_addc_co_u32_e32 v53, vcc, 0, v58, vcc
	v_add_co_u32_e32 v54, vcc, s16, v57
	v_addc_co_u32_e32 v55, vcc, 0, v58, vcc
	s_waitcnt vmcnt(1)
	v_fmac_f32_e32 v37, v44, v8
	s_waitcnt vmcnt(0)
	v_fmac_f32_e32 v36, v48, v8
	v_fmac_f32_e32 v37, v45, v9
	v_fmac_f32_e32 v36, v49, v9
	v_fmac_f32_e32 v37, v46, v10
	v_fmac_f32_e32 v36, v50, v10
	v_fmac_f32_e32 v37, v47, v11
	v_fmac_f32_e32 v36, v51, v11
	;; [unrolled: 16-line block ×11, first 2 shown]
	global_load_dwordx4 v[44:47], v[52:53], off
	global_load_dwordx4 v[48:51], v[54:55], off
	s_waitcnt vmcnt(1)
	v_fmac_f32_e32 v17, v44, v8
	v_fmac_f32_e32 v17, v45, v9
	v_add_co_u32_e32 v44, vcc, s36, v57
	v_fmac_f32_e32 v17, v46, v10
	v_addc_co_u32_e32 v45, vcc, 0, v58, vcc
	v_fmac_f32_e32 v17, v47, v11
	global_load_dwordx4 v[44:47], v[44:45], off
	s_waitcnt vmcnt(1)
	v_fmac_f32_e32 v16, v48, v8
	v_fmac_f32_e32 v16, v49, v9
	;; [unrolled: 1-line block ×4, first 2 shown]
	s_waitcnt vmcnt(0)
	v_fmac_f32_e32 v7, v44, v8
	v_fmac_f32_e32 v7, v45, v9
	v_pk_mul_f32 v[8:9], v[12:13], v[8:9]
	v_fmac_f32_e32 v7, v46, v10
	v_add_f32_e32 v8, v8, v42
	v_fmac_f32_e32 v7, v47, v11
	v_pk_mul_f32 v[10:11], v[14:15], v[10:11]
	v_add_f32_e32 v8, v9, v8
	v_add_f32_e32 v8, v10, v8
	;; [unrolled: 1-line block ×3, first 2 shown]
	s_cbranch_scc0 .LBB27_1
; %bb.2:
	v_mbcnt_lo_u32_b32 v1, -1, 0
	v_mbcnt_hi_u32_b32 v5, -1, v1
	v_and_b32_e32 v2, 64, v5
	v_xor_b32_e32 v1, 16, v5
	v_add_u32_e32 v6, 64, v2
	v_cmp_lt_i32_e32 vcc, v1, v6
	v_cndmask_b32_e32 v1, v5, v1, vcc
	v_lshlrev_b32_e32 v1, 2, v1
	ds_bpermute_b32 v3, v1, v42
	v_xor_b32_e32 v2, 8, v5
	v_cmp_lt_i32_e32 vcc, v2, v6
	v_cndmask_b32_e32 v2, v5, v2, vcc
	v_lshlrev_b32_e32 v2, 2, v2
	s_waitcnt lgkmcnt(0)
	v_add_f32_e32 v4, v42, v3
	ds_bpermute_b32 v8, v2, v4
	v_xor_b32_e32 v3, 4, v5
	v_cmp_lt_i32_e32 vcc, v3, v6
	v_cndmask_b32_e32 v3, v5, v3, vcc
	v_lshlrev_b32_e32 v3, 2, v3
	s_waitcnt lgkmcnt(0)
	v_add_f32_e32 v8, v4, v8
	;; [unrolled: 7-line block ×4, first 2 shown]
	ds_bpermute_b32 v9, v6, v8
	v_lshrrev_b32_e32 v5, 5, v0
	v_and_b32_e32 v10, 31, v0
	v_cmp_eq_u32_e32 vcc, 0, v10
	v_lshlrev_b32_e32 v5, 2, v5
	s_and_saveexec_b64 s[2:3], vcc
	s_cbranch_execz .LBB27_4
; %bb.3:
	s_waitcnt lgkmcnt(0)
	v_add_f32_e32 v8, v8, v9
	ds_write_b32 v5, v8
.LBB27_4:
	s_or_b64 exec, exec, s[2:3]
	ds_bpermute_b32 v8, v1, v41
	s_waitcnt lgkmcnt(0)
	v_add_f32_e32 v8, v41, v8
	ds_bpermute_b32 v9, v2, v8
	s_waitcnt lgkmcnt(0)
	v_add_f32_e32 v8, v8, v9
	ds_bpermute_b32 v9, v3, v8
	s_waitcnt lgkmcnt(0)
	v_add_f32_e32 v8, v8, v9
	ds_bpermute_b32 v9, v4, v8
	s_waitcnt lgkmcnt(0)
	v_add_f32_e32 v8, v8, v9
	ds_bpermute_b32 v9, v6, v8
	s_and_saveexec_b64 s[2:3], vcc
	s_cbranch_execz .LBB27_6
; %bb.5:
	s_waitcnt lgkmcnt(0)
	v_add_f32_e32 v8, v8, v9
	ds_write_b32 v5, v8 offset:16
.LBB27_6:
	s_or_b64 exec, exec, s[2:3]
	ds_bpermute_b32 v8, v1, v40
	s_waitcnt lgkmcnt(0)
	v_add_f32_e32 v8, v40, v8
	ds_bpermute_b32 v9, v2, v8
	s_waitcnt lgkmcnt(0)
	v_add_f32_e32 v8, v8, v9
	ds_bpermute_b32 v9, v3, v8
	s_waitcnt lgkmcnt(0)
	v_add_f32_e32 v8, v8, v9
	ds_bpermute_b32 v9, v4, v8
	s_waitcnt lgkmcnt(0)
	v_add_f32_e32 v8, v8, v9
	ds_bpermute_b32 v9, v6, v8
	s_and_saveexec_b64 s[2:3], vcc
	s_cbranch_execz .LBB27_8
; %bb.7:
	s_waitcnt lgkmcnt(0)
	v_add_f32_e32 v8, v8, v9
	ds_write_b32 v5, v8 offset:32
.LBB27_8:
	;; [unrolled: 21-line block ×27, first 2 shown]
	s_or_b64 exec, exec, s[2:3]
	v_cmp_eq_u32_e32 vcc, 0, v0
	s_waitcnt lgkmcnt(0)
	s_barrier
	s_and_saveexec_b64 s[2:3], vcc
	s_cbranch_execz .LBB27_60
; %bb.59:
	v_mov_b32_e32 v16, 0
	ds_read_b128 v[0:3], v16
	s_ashr_i32 s7, s6, 31
	ds_read_b128 v[4:7], v16 offset:16
	ds_read_b128 v[8:11], v16 offset:32
	;; [unrolled: 1-line block ×3, first 2 shown]
	s_lshl_b64 s[2:3], s[6:7], 2
	s_add_u32 s0, s0, s2
	s_waitcnt lgkmcnt(3)
	v_add_f32_e32 v0, 0, v0
	v_add_f32_e32 v0, v0, v1
	;; [unrolled: 1-line block ×4, first 2 shown]
	s_addc_u32 s1, s1, s3
	global_store_dword v16, v0, s[0:1]
	s_waitcnt lgkmcnt(2)
	v_add_f32_e32 v0, 0, v4
	v_add_f32_e32 v0, v0, v5
	;; [unrolled: 1-line block ×4, first 2 shown]
	global_store_dword v16, v0, s[0:1] offset:1024
	s_waitcnt lgkmcnt(1)
	v_add_f32_e32 v0, 0, v8
	v_add_f32_e32 v0, v0, v9
	;; [unrolled: 1-line block ×4, first 2 shown]
	global_store_dword v16, v0, s[0:1] offset:2048
	s_waitcnt lgkmcnt(0)
	v_add_f32_e32 v0, 0, v12
	v_add_f32_e32 v4, v0, v13
	ds_read_b128 v[0:3], v16 offset:64
	v_add_f32_e32 v4, v4, v14
	v_add_f32_e32 v4, v4, v15
	global_store_dword v16, v4, s[0:1] offset:3072
	ds_read_b128 v[4:7], v16 offset:80
	s_waitcnt lgkmcnt(1)
	v_add_f32_e32 v0, 0, v0
	v_add_f32_e32 v0, v0, v1
	;; [unrolled: 1-line block ×4, first 2 shown]
	v_mov_b32_e32 v8, 0x1000
	global_store_dword v8, v0, s[0:1]
	s_waitcnt lgkmcnt(0)
	v_add_f32_e32 v0, 0, v4
	v_add_f32_e32 v4, v0, v5
	ds_read_b128 v[0:3], v16 offset:96
	v_add_f32_e32 v4, v4, v6
	v_add_f32_e32 v4, v4, v7
	global_store_dword v8, v4, s[0:1] offset:1024
	ds_read_b128 v[4:7], v16 offset:112
	s_waitcnt lgkmcnt(1)
	v_add_f32_e32 v0, 0, v0
	v_add_f32_e32 v0, v0, v1
	v_add_f32_e32 v0, v0, v2
	v_add_f32_e32 v0, v0, v3
	global_store_dword v8, v0, s[0:1] offset:2048
	s_waitcnt lgkmcnt(0)
	v_add_f32_e32 v0, 0, v4
	v_add_f32_e32 v4, v0, v5
	ds_read_b128 v[0:3], v16 offset:128
	v_add_f32_e32 v4, v4, v6
	v_add_f32_e32 v4, v4, v7
	global_store_dword v8, v4, s[0:1] offset:3072
	ds_read_b128 v[4:7], v16 offset:144
	s_waitcnt lgkmcnt(1)
	v_add_f32_e32 v0, 0, v0
	v_add_f32_e32 v0, v0, v1
	;; [unrolled: 1-line block ×4, first 2 shown]
	v_mov_b32_e32 v12, 0x2000
	global_store_dword v12, v0, s[0:1]
	ds_read_b128 v[0:3], v16 offset:160
	ds_read_b128 v[8:11], v16 offset:176
	s_waitcnt lgkmcnt(2)
	v_add_f32_e32 v4, 0, v4
	v_add_f32_e32 v4, v4, v5
	;; [unrolled: 1-line block ×3, first 2 shown]
	s_waitcnt lgkmcnt(1)
	v_add_f32_e32 v0, 0, v0
	v_add_f32_e32 v0, v0, v1
	v_add_f32_e32 v0, v0, v2
	v_add_f32_e32 v0, v0, v3
	v_add_f32_e32 v4, v4, v7
	global_store_dword v12, v0, s[0:1] offset:2048
	s_waitcnt lgkmcnt(0)
	v_add_f32_e32 v0, 0, v8
	global_store_dword v12, v4, s[0:1] offset:1024
	v_add_f32_e32 v4, v0, v9
	ds_read_b128 v[0:3], v16 offset:192
	v_add_f32_e32 v4, v4, v10
	v_add_f32_e32 v4, v4, v11
	global_store_dword v12, v4, s[0:1] offset:3072
	ds_read_b128 v[4:7], v16 offset:208
	s_waitcnt lgkmcnt(1)
	v_add_f32_e32 v0, 0, v0
	v_add_f32_e32 v0, v0, v1
	;; [unrolled: 1-line block ×4, first 2 shown]
	v_mov_b32_e32 v8, 0x3000
	global_store_dword v8, v0, s[0:1]
	s_waitcnt lgkmcnt(0)
	v_add_f32_e32 v0, 0, v4
	v_add_f32_e32 v4, v0, v5
	ds_read_b128 v[0:3], v16 offset:224
	v_add_f32_e32 v4, v4, v6
	v_add_f32_e32 v4, v4, v7
	global_store_dword v8, v4, s[0:1] offset:1024
	ds_read_b128 v[4:7], v16 offset:240
	s_waitcnt lgkmcnt(1)
	v_add_f32_e32 v0, 0, v0
	v_add_f32_e32 v0, v0, v1
	;; [unrolled: 1-line block ×4, first 2 shown]
	global_store_dword v8, v0, s[0:1] offset:2048
	s_waitcnt lgkmcnt(0)
	v_add_f32_e32 v0, 0, v4
	v_add_f32_e32 v4, v0, v5
	ds_read_b128 v[0:3], v16 offset:256
	v_add_f32_e32 v4, v4, v6
	v_add_f32_e32 v4, v4, v7
	global_store_dword v8, v4, s[0:1] offset:3072
	ds_read_b128 v[4:7], v16 offset:272
	s_waitcnt lgkmcnt(1)
	v_add_f32_e32 v0, 0, v0
	v_add_f32_e32 v0, v0, v1
	;; [unrolled: 1-line block ×4, first 2 shown]
	v_mov_b32_e32 v12, 0x4000
	global_store_dword v12, v0, s[0:1]
	ds_read_b128 v[0:3], v16 offset:288
	ds_read_b128 v[8:11], v16 offset:304
	s_waitcnt lgkmcnt(2)
	v_add_f32_e32 v4, 0, v4
	v_add_f32_e32 v4, v4, v5
	;; [unrolled: 1-line block ×3, first 2 shown]
	s_waitcnt lgkmcnt(1)
	v_add_f32_e32 v0, 0, v0
	v_add_f32_e32 v0, v0, v1
	;; [unrolled: 1-line block ×5, first 2 shown]
	global_store_dword v12, v0, s[0:1] offset:2048
	s_waitcnt lgkmcnt(0)
	v_add_f32_e32 v0, 0, v8
	global_store_dword v12, v4, s[0:1] offset:1024
	v_add_f32_e32 v4, v0, v9
	ds_read_b128 v[0:3], v16 offset:320
	v_add_f32_e32 v4, v4, v10
	v_add_f32_e32 v4, v4, v11
	global_store_dword v12, v4, s[0:1] offset:3072
	ds_read_b128 v[4:7], v16 offset:336
	s_waitcnt lgkmcnt(1)
	v_add_f32_e32 v0, 0, v0
	v_add_f32_e32 v0, v0, v1
	;; [unrolled: 1-line block ×4, first 2 shown]
	v_mov_b32_e32 v8, 0x5000
	global_store_dword v8, v0, s[0:1]
	s_waitcnt lgkmcnt(0)
	v_add_f32_e32 v0, 0, v4
	v_add_f32_e32 v4, v0, v5
	ds_read_b128 v[0:3], v16 offset:352
	v_add_f32_e32 v4, v4, v6
	v_add_f32_e32 v4, v4, v7
	global_store_dword v8, v4, s[0:1] offset:1024
	ds_read_b128 v[4:7], v16 offset:368
	s_waitcnt lgkmcnt(1)
	v_add_f32_e32 v0, 0, v0
	v_add_f32_e32 v0, v0, v1
	;; [unrolled: 1-line block ×4, first 2 shown]
	global_store_dword v8, v0, s[0:1] offset:2048
	s_waitcnt lgkmcnt(0)
	v_add_f32_e32 v0, 0, v4
	v_add_f32_e32 v4, v0, v5
	ds_read_b128 v[0:3], v16 offset:384
	v_add_f32_e32 v4, v4, v6
	v_add_f32_e32 v4, v4, v7
	global_store_dword v8, v4, s[0:1] offset:3072
	ds_read_b128 v[4:7], v16 offset:400
	s_waitcnt lgkmcnt(1)
	v_add_f32_e32 v0, 0, v0
	v_add_f32_e32 v0, v0, v1
	;; [unrolled: 1-line block ×4, first 2 shown]
	v_mov_b32_e32 v8, 0x6000
	global_store_dword v8, v0, s[0:1]
	s_waitcnt lgkmcnt(0)
	v_add_f32_e32 v0, 0, v4
	v_add_f32_e32 v4, v0, v5
	ds_read_b128 v[0:3], v16 offset:416
	v_add_f32_e32 v4, v4, v6
	v_add_f32_e32 v4, v4, v7
	global_store_dword v8, v4, s[0:1] offset:1024
	ds_read_b128 v[4:7], v16 offset:432
	s_waitcnt lgkmcnt(1)
	v_add_f32_e32 v0, 0, v0
	v_add_f32_e32 v0, v0, v1
	;; [unrolled: 1-line block ×4, first 2 shown]
	global_store_dword v8, v0, s[0:1] offset:2048
	s_waitcnt lgkmcnt(0)
	v_add_f32_e32 v0, 0, v4
	v_add_f32_e32 v0, v0, v5
	;; [unrolled: 1-line block ×4, first 2 shown]
	global_store_dword v8, v0, s[0:1] offset:3072
.LBB27_60:
	s_endpgm
	.section	.rodata,"a",@progbits
	.p2align	6, 0x0
	.amdhsa_kernel _Z23fp32_router_gemm_kernelIfLi128ELi28ELi256ELi3072EEvPfPKT_PKf
		.amdhsa_group_segment_fixed_size 448
		.amdhsa_private_segment_fixed_size 0
		.amdhsa_kernarg_size 24
		.amdhsa_user_sgpr_count 6
		.amdhsa_user_sgpr_private_segment_buffer 1
		.amdhsa_user_sgpr_dispatch_ptr 0
		.amdhsa_user_sgpr_queue_ptr 0
		.amdhsa_user_sgpr_kernarg_segment_ptr 1
		.amdhsa_user_sgpr_dispatch_id 0
		.amdhsa_user_sgpr_flat_scratch_init 0
		.amdhsa_user_sgpr_kernarg_preload_length 0
		.amdhsa_user_sgpr_kernarg_preload_offset 0
		.amdhsa_user_sgpr_private_segment_size 0
		.amdhsa_uses_dynamic_stack 0
		.amdhsa_system_sgpr_private_segment_wavefront_offset 0
		.amdhsa_system_sgpr_workgroup_id_x 1
		.amdhsa_system_sgpr_workgroup_id_y 0
		.amdhsa_system_sgpr_workgroup_id_z 0
		.amdhsa_system_sgpr_workgroup_info 0
		.amdhsa_system_vgpr_workitem_id 0
		.amdhsa_next_free_vgpr 59
		.amdhsa_next_free_sgpr 37
		.amdhsa_accum_offset 60
		.amdhsa_reserve_vcc 1
		.amdhsa_reserve_flat_scratch 0
		.amdhsa_float_round_mode_32 0
		.amdhsa_float_round_mode_16_64 0
		.amdhsa_float_denorm_mode_32 3
		.amdhsa_float_denorm_mode_16_64 3
		.amdhsa_dx10_clamp 1
		.amdhsa_ieee_mode 1
		.amdhsa_fp16_overflow 0
		.amdhsa_tg_split 0
		.amdhsa_exception_fp_ieee_invalid_op 0
		.amdhsa_exception_fp_denorm_src 0
		.amdhsa_exception_fp_ieee_div_zero 0
		.amdhsa_exception_fp_ieee_overflow 0
		.amdhsa_exception_fp_ieee_underflow 0
		.amdhsa_exception_fp_ieee_inexact 0
		.amdhsa_exception_int_div_zero 0
	.end_amdhsa_kernel
	.section	.text._Z23fp32_router_gemm_kernelIfLi128ELi28ELi256ELi3072EEvPfPKT_PKf,"axG",@progbits,_Z23fp32_router_gemm_kernelIfLi128ELi28ELi256ELi3072EEvPfPKT_PKf,comdat
.Lfunc_end27:
	.size	_Z23fp32_router_gemm_kernelIfLi128ELi28ELi256ELi3072EEvPfPKT_PKf, .Lfunc_end27-_Z23fp32_router_gemm_kernelIfLi128ELi28ELi256ELi3072EEvPfPKT_PKf
                                        ; -- End function
	.section	.AMDGPU.csdata,"",@progbits
; Kernel info:
; codeLenInByte = 5540
; NumSgprs: 41
; NumVgprs: 59
; NumAgprs: 0
; TotalNumVgprs: 59
; ScratchSize: 0
; MemoryBound: 0
; FloatMode: 240
; IeeeMode: 1
; LDSByteSize: 448 bytes/workgroup (compile time only)
; SGPRBlocks: 5
; VGPRBlocks: 7
; NumSGPRsForWavesPerEU: 41
; NumVGPRsForWavesPerEU: 59
; AccumOffset: 60
; Occupancy: 8
; WaveLimiterHint : 1
; COMPUTE_PGM_RSRC2:SCRATCH_EN: 0
; COMPUTE_PGM_RSRC2:USER_SGPR: 6
; COMPUTE_PGM_RSRC2:TRAP_HANDLER: 0
; COMPUTE_PGM_RSRC2:TGID_X_EN: 1
; COMPUTE_PGM_RSRC2:TGID_Y_EN: 0
; COMPUTE_PGM_RSRC2:TGID_Z_EN: 0
; COMPUTE_PGM_RSRC2:TIDIG_COMP_CNT: 0
; COMPUTE_PGM_RSRC3_GFX90A:ACCUM_OFFSET: 14
; COMPUTE_PGM_RSRC3_GFX90A:TG_SPLIT: 0
	.section	.text._Z23fp32_router_gemm_kernelIfLi128ELi29ELi256ELi3072EEvPfPKT_PKf,"axG",@progbits,_Z23fp32_router_gemm_kernelIfLi128ELi29ELi256ELi3072EEvPfPKT_PKf,comdat
	.protected	_Z23fp32_router_gemm_kernelIfLi128ELi29ELi256ELi3072EEvPfPKT_PKf ; -- Begin function _Z23fp32_router_gemm_kernelIfLi128ELi29ELi256ELi3072EEvPfPKT_PKf
	.globl	_Z23fp32_router_gemm_kernelIfLi128ELi29ELi256ELi3072EEvPfPKT_PKf
	.p2align	8
	.type	_Z23fp32_router_gemm_kernelIfLi128ELi29ELi256ELi3072EEvPfPKT_PKf,@function
_Z23fp32_router_gemm_kernelIfLi128ELi29ELi256ELi3072EEvPfPKT_PKf: ; @_Z23fp32_router_gemm_kernelIfLi128ELi29ELi256ELi3072EEvPfPKT_PKf
; %bb.0:
	s_load_dwordx4 s[0:3], s[4:5], 0x0
	s_load_dwordx2 s[8:9], s[4:5], 0x10
	s_mul_i32 s4, s6, 0xc00
	s_ashr_i32 s5, s4, 31
	s_lshl_b64 s[4:5], s[4:5], 2
	v_lshlrev_b32_e32 v2, 2, v0
	s_waitcnt lgkmcnt(0)
	s_add_u32 s4, s8, s4
	v_or_b32_e32 v1, 0x200, v2
	v_or_b32_e32 v4, 0x400, v2
	;; [unrolled: 1-line block ×4, first 2 shown]
	s_addc_u32 s5, s9, s5
	s_mov_b64 s[8:9], 0
	v_mov_b32_e32 v43, 0
	v_mov_b32_e32 v44, s3
	s_movk_i32 s7, 0x3000
	s_movk_i32 s10, 0x6000
	s_mov_b32 s11, 0x9000
	s_mov_b32 s12, 0xc000
	s_mov_b32 s13, 0xf000
	s_mov_b32 s14, 0x12000
	s_mov_b32 s15, 0x15000
	s_mov_b32 s16, 0x18000
	s_mov_b32 s17, 0x1b000
	s_mov_b32 s18, 0x1e000
	s_mov_b32 s19, 0x21000
	s_mov_b32 s20, 0x24000
	s_mov_b32 s21, 0x27000
	s_mov_b32 s22, 0x2a000
	s_mov_b32 s23, 0x2d000
	s_mov_b32 s24, 0x30000
	s_mov_b32 s25, 0x33000
	s_mov_b32 s26, 0x36000
	s_mov_b32 s27, 0x39000
	s_mov_b32 s28, 0x3c000
	s_mov_b32 s29, 0x3f000
	s_mov_b32 s30, 0x42000
	s_mov_b32 s31, 0x45000
	s_mov_b32 s33, 0x48000
	s_mov_b32 s34, 0x4b000
	s_mov_b32 s35, 0x4e000
	s_mov_b32 s36, 0x51000
	s_mov_b32 s37, 0x54000
	v_mov_b32_e32 v42, 0
	v_mov_b32_e32 v41, 0
	;; [unrolled: 1-line block ×28, first 2 shown]
	v_or_b32_e32 v5, 0xa00, v2
.LBB28_1:                               ; =>This Inner Loop Header: Depth=1
	s_cmp_eq_u32 s8, 1
	s_cselect_b64 vcc, -1, 0
	s_cmp_eq_u32 s8, 2
	v_cndmask_b32_e32 v8, v2, v1, vcc
	s_cselect_b64 vcc, -1, 0
	s_cmp_eq_u32 s8, 3
	v_cndmask_b32_e32 v8, v8, v4, vcc
	;; [unrolled: 3-line block ×4, first 2 shown]
	s_cselect_b64 vcc, -1, 0
	v_cndmask_b32_e32 v8, v8, v5, vcc
	v_lshlrev_b32_e32 v45, 2, v8
	v_add_co_u32_e32 v58, vcc, s2, v45
	v_addc_co_u32_e32 v59, vcc, 0, v44, vcc
	v_add_co_u32_e32 v54, vcc, s7, v58
	v_addc_co_u32_e32 v55, vcc, 0, v59, vcc
	;; [unrolled: 2-line block ×3, first 2 shown]
	global_load_dwordx4 v[46:49], v[54:55], off
	global_load_dwordx4 v[50:53], v[56:57], off
	global_load_dwordx4 v[8:11], v45, s[4:5]
	global_load_dwordx4 v[12:15], v45, s[2:3]
	v_add_co_u32_e32 v54, vcc, s11, v58
	v_addc_co_u32_e32 v55, vcc, 0, v59, vcc
	v_add_co_u32_e32 v56, vcc, s12, v58
	v_addc_co_u32_e32 v57, vcc, 0, v59, vcc
	s_add_u32 s8, s8, 1
	s_addc_u32 s9, s9, 0
	s_cmp_eq_u32 s8, 6
	s_waitcnt vmcnt(1)
	v_fmac_f32_e32 v42, v46, v8
	v_fmac_f32_e32 v41, v50, v8
	;; [unrolled: 1-line block ×8, first 2 shown]
	global_load_dwordx4 v[46:49], v[54:55], off
	global_load_dwordx4 v[50:53], v[56:57], off
	v_add_co_u32_e32 v54, vcc, s13, v58
	v_addc_co_u32_e32 v55, vcc, 0, v59, vcc
	v_add_co_u32_e32 v56, vcc, s14, v58
	v_addc_co_u32_e32 v57, vcc, 0, v59, vcc
	s_waitcnt vmcnt(1)
	v_fmac_f32_e32 v40, v46, v8
	s_waitcnt vmcnt(0)
	v_fmac_f32_e32 v39, v50, v8
	v_fmac_f32_e32 v40, v47, v9
	v_fmac_f32_e32 v39, v51, v9
	v_fmac_f32_e32 v40, v48, v10
	v_fmac_f32_e32 v39, v52, v10
	v_fmac_f32_e32 v40, v49, v11
	v_fmac_f32_e32 v39, v53, v11
	global_load_dwordx4 v[46:49], v[54:55], off
	global_load_dwordx4 v[50:53], v[56:57], off
	v_add_co_u32_e32 v54, vcc, s15, v58
	v_addc_co_u32_e32 v55, vcc, 0, v59, vcc
	v_add_co_u32_e32 v56, vcc, s16, v58
	v_addc_co_u32_e32 v57, vcc, 0, v59, vcc
	s_waitcnt vmcnt(1)
	v_fmac_f32_e32 v38, v46, v8
	s_waitcnt vmcnt(0)
	v_fmac_f32_e32 v37, v50, v8
	v_fmac_f32_e32 v38, v47, v9
	v_fmac_f32_e32 v37, v51, v9
	v_fmac_f32_e32 v38, v48, v10
	v_fmac_f32_e32 v37, v52, v10
	v_fmac_f32_e32 v38, v49, v11
	v_fmac_f32_e32 v37, v53, v11
	;; [unrolled: 16-line block ×12, first 2 shown]
	global_load_dwordx4 v[46:49], v[54:55], off
	global_load_dwordx4 v[50:53], v[56:57], off
	s_waitcnt vmcnt(1)
	v_fmac_f32_e32 v16, v46, v8
	s_waitcnt vmcnt(0)
	v_fmac_f32_e32 v7, v50, v8
	v_fmac_f32_e32 v16, v47, v9
	;; [unrolled: 1-line block ×3, first 2 shown]
	v_pk_mul_f32 v[8:9], v[12:13], v[8:9]
	v_fmac_f32_e32 v16, v48, v10
	v_fmac_f32_e32 v7, v52, v10
	v_add_f32_e32 v8, v8, v43
	v_fmac_f32_e32 v16, v49, v11
	v_fmac_f32_e32 v7, v53, v11
	v_pk_mul_f32 v[10:11], v[14:15], v[10:11]
	v_add_f32_e32 v8, v9, v8
	v_add_f32_e32 v8, v10, v8
	;; [unrolled: 1-line block ×3, first 2 shown]
	s_cbranch_scc0 .LBB28_1
; %bb.2:
	v_mbcnt_lo_u32_b32 v1, -1, 0
	v_mbcnt_hi_u32_b32 v5, -1, v1
	v_and_b32_e32 v2, 64, v5
	v_xor_b32_e32 v1, 16, v5
	v_add_u32_e32 v6, 64, v2
	v_cmp_lt_i32_e32 vcc, v1, v6
	v_cndmask_b32_e32 v1, v5, v1, vcc
	v_lshlrev_b32_e32 v1, 2, v1
	ds_bpermute_b32 v3, v1, v43
	v_xor_b32_e32 v2, 8, v5
	v_cmp_lt_i32_e32 vcc, v2, v6
	v_cndmask_b32_e32 v2, v5, v2, vcc
	v_lshlrev_b32_e32 v2, 2, v2
	s_waitcnt lgkmcnt(0)
	v_add_f32_e32 v4, v43, v3
	ds_bpermute_b32 v8, v2, v4
	v_xor_b32_e32 v3, 4, v5
	v_cmp_lt_i32_e32 vcc, v3, v6
	v_cndmask_b32_e32 v3, v5, v3, vcc
	v_lshlrev_b32_e32 v3, 2, v3
	s_waitcnt lgkmcnt(0)
	v_add_f32_e32 v8, v4, v8
	;; [unrolled: 7-line block ×4, first 2 shown]
	ds_bpermute_b32 v9, v6, v8
	v_lshrrev_b32_e32 v5, 5, v0
	v_and_b32_e32 v10, 31, v0
	v_cmp_eq_u32_e32 vcc, 0, v10
	v_lshlrev_b32_e32 v5, 2, v5
	s_and_saveexec_b64 s[2:3], vcc
	s_cbranch_execz .LBB28_4
; %bb.3:
	s_waitcnt lgkmcnt(0)
	v_add_f32_e32 v8, v8, v9
	ds_write_b32 v5, v8
.LBB28_4:
	s_or_b64 exec, exec, s[2:3]
	ds_bpermute_b32 v8, v1, v42
	s_waitcnt lgkmcnt(0)
	v_add_f32_e32 v8, v42, v8
	ds_bpermute_b32 v9, v2, v8
	s_waitcnt lgkmcnt(0)
	v_add_f32_e32 v8, v8, v9
	ds_bpermute_b32 v9, v3, v8
	s_waitcnt lgkmcnt(0)
	v_add_f32_e32 v8, v8, v9
	ds_bpermute_b32 v9, v4, v8
	s_waitcnt lgkmcnt(0)
	v_add_f32_e32 v8, v8, v9
	ds_bpermute_b32 v9, v6, v8
	s_and_saveexec_b64 s[2:3], vcc
	s_cbranch_execz .LBB28_6
; %bb.5:
	s_waitcnt lgkmcnt(0)
	v_add_f32_e32 v8, v8, v9
	ds_write_b32 v5, v8 offset:16
.LBB28_6:
	s_or_b64 exec, exec, s[2:3]
	ds_bpermute_b32 v8, v1, v41
	s_waitcnt lgkmcnt(0)
	v_add_f32_e32 v8, v41, v8
	ds_bpermute_b32 v9, v2, v8
	s_waitcnt lgkmcnt(0)
	v_add_f32_e32 v8, v8, v9
	ds_bpermute_b32 v9, v3, v8
	s_waitcnt lgkmcnt(0)
	v_add_f32_e32 v8, v8, v9
	ds_bpermute_b32 v9, v4, v8
	s_waitcnt lgkmcnt(0)
	v_add_f32_e32 v8, v8, v9
	ds_bpermute_b32 v9, v6, v8
	s_and_saveexec_b64 s[2:3], vcc
	s_cbranch_execz .LBB28_8
; %bb.7:
	s_waitcnt lgkmcnt(0)
	v_add_f32_e32 v8, v8, v9
	ds_write_b32 v5, v8 offset:32
.LBB28_8:
	;; [unrolled: 21-line block ×28, first 2 shown]
	s_or_b64 exec, exec, s[2:3]
	v_cmp_eq_u32_e32 vcc, 0, v0
	s_waitcnt lgkmcnt(0)
	s_barrier
	s_and_saveexec_b64 s[2:3], vcc
	s_cbranch_execz .LBB28_62
; %bb.61:
	v_mov_b32_e32 v16, 0
	ds_read_b128 v[0:3], v16
	s_ashr_i32 s7, s6, 31
	ds_read_b128 v[4:7], v16 offset:16
	ds_read_b128 v[8:11], v16 offset:32
	;; [unrolled: 1-line block ×3, first 2 shown]
	s_lshl_b64 s[2:3], s[6:7], 2
	s_add_u32 s0, s0, s2
	s_waitcnt lgkmcnt(3)
	v_add_f32_e32 v0, 0, v0
	v_add_f32_e32 v0, v0, v1
	;; [unrolled: 1-line block ×4, first 2 shown]
	s_addc_u32 s1, s1, s3
	global_store_dword v16, v0, s[0:1]
	s_waitcnt lgkmcnt(2)
	v_add_f32_e32 v0, 0, v4
	v_add_f32_e32 v0, v0, v5
	v_add_f32_e32 v0, v0, v6
	v_add_f32_e32 v0, v0, v7
	global_store_dword v16, v0, s[0:1] offset:1024
	s_waitcnt lgkmcnt(1)
	v_add_f32_e32 v0, 0, v8
	v_add_f32_e32 v0, v0, v9
	;; [unrolled: 1-line block ×4, first 2 shown]
	global_store_dword v16, v0, s[0:1] offset:2048
	s_waitcnt lgkmcnt(0)
	v_add_f32_e32 v0, 0, v12
	v_add_f32_e32 v4, v0, v13
	ds_read_b128 v[0:3], v16 offset:64
	v_add_f32_e32 v4, v4, v14
	v_add_f32_e32 v4, v4, v15
	global_store_dword v16, v4, s[0:1] offset:3072
	ds_read_b128 v[4:7], v16 offset:80
	s_waitcnt lgkmcnt(1)
	v_add_f32_e32 v0, 0, v0
	v_add_f32_e32 v0, v0, v1
	;; [unrolled: 1-line block ×4, first 2 shown]
	v_mov_b32_e32 v8, 0x1000
	global_store_dword v8, v0, s[0:1]
	s_waitcnt lgkmcnt(0)
	v_add_f32_e32 v0, 0, v4
	v_add_f32_e32 v4, v0, v5
	ds_read_b128 v[0:3], v16 offset:96
	v_add_f32_e32 v4, v4, v6
	v_add_f32_e32 v4, v4, v7
	global_store_dword v8, v4, s[0:1] offset:1024
	ds_read_b128 v[4:7], v16 offset:112
	s_waitcnt lgkmcnt(1)
	v_add_f32_e32 v0, 0, v0
	v_add_f32_e32 v0, v0, v1
	;; [unrolled: 1-line block ×4, first 2 shown]
	global_store_dword v8, v0, s[0:1] offset:2048
	s_waitcnt lgkmcnt(0)
	v_add_f32_e32 v0, 0, v4
	v_add_f32_e32 v4, v0, v5
	ds_read_b128 v[0:3], v16 offset:128
	v_add_f32_e32 v4, v4, v6
	v_add_f32_e32 v4, v4, v7
	global_store_dword v8, v4, s[0:1] offset:3072
	ds_read_b128 v[4:7], v16 offset:144
	s_waitcnt lgkmcnt(1)
	v_add_f32_e32 v0, 0, v0
	v_add_f32_e32 v0, v0, v1
	v_add_f32_e32 v0, v0, v2
	v_add_f32_e32 v0, v0, v3
	v_mov_b32_e32 v12, 0x2000
	global_store_dword v12, v0, s[0:1]
	ds_read_b128 v[0:3], v16 offset:160
	ds_read_b128 v[8:11], v16 offset:176
	s_waitcnt lgkmcnt(2)
	v_add_f32_e32 v4, 0, v4
	v_add_f32_e32 v4, v4, v5
	;; [unrolled: 1-line block ×3, first 2 shown]
	s_waitcnt lgkmcnt(1)
	v_add_f32_e32 v0, 0, v0
	v_add_f32_e32 v0, v0, v1
	;; [unrolled: 1-line block ×5, first 2 shown]
	global_store_dword v12, v0, s[0:1] offset:2048
	s_waitcnt lgkmcnt(0)
	v_add_f32_e32 v0, 0, v8
	global_store_dword v12, v4, s[0:1] offset:1024
	v_add_f32_e32 v4, v0, v9
	ds_read_b128 v[0:3], v16 offset:192
	v_add_f32_e32 v4, v4, v10
	v_add_f32_e32 v4, v4, v11
	global_store_dword v12, v4, s[0:1] offset:3072
	ds_read_b128 v[4:7], v16 offset:208
	s_waitcnt lgkmcnt(1)
	v_add_f32_e32 v0, 0, v0
	v_add_f32_e32 v0, v0, v1
	;; [unrolled: 1-line block ×4, first 2 shown]
	v_mov_b32_e32 v8, 0x3000
	global_store_dword v8, v0, s[0:1]
	s_waitcnt lgkmcnt(0)
	v_add_f32_e32 v0, 0, v4
	v_add_f32_e32 v4, v0, v5
	ds_read_b128 v[0:3], v16 offset:224
	v_add_f32_e32 v4, v4, v6
	v_add_f32_e32 v4, v4, v7
	global_store_dword v8, v4, s[0:1] offset:1024
	ds_read_b128 v[4:7], v16 offset:240
	s_waitcnt lgkmcnt(1)
	v_add_f32_e32 v0, 0, v0
	v_add_f32_e32 v0, v0, v1
	;; [unrolled: 1-line block ×4, first 2 shown]
	global_store_dword v8, v0, s[0:1] offset:2048
	s_waitcnt lgkmcnt(0)
	v_add_f32_e32 v0, 0, v4
	v_add_f32_e32 v4, v0, v5
	ds_read_b128 v[0:3], v16 offset:256
	v_add_f32_e32 v4, v4, v6
	v_add_f32_e32 v4, v4, v7
	global_store_dword v8, v4, s[0:1] offset:3072
	ds_read_b128 v[4:7], v16 offset:272
	s_waitcnt lgkmcnt(1)
	v_add_f32_e32 v0, 0, v0
	v_add_f32_e32 v0, v0, v1
	;; [unrolled: 1-line block ×4, first 2 shown]
	v_mov_b32_e32 v12, 0x4000
	global_store_dword v12, v0, s[0:1]
	ds_read_b128 v[0:3], v16 offset:288
	ds_read_b128 v[8:11], v16 offset:304
	s_waitcnt lgkmcnt(2)
	v_add_f32_e32 v4, 0, v4
	v_add_f32_e32 v4, v4, v5
	;; [unrolled: 1-line block ×3, first 2 shown]
	s_waitcnt lgkmcnt(1)
	v_add_f32_e32 v0, 0, v0
	v_add_f32_e32 v0, v0, v1
	;; [unrolled: 1-line block ×5, first 2 shown]
	global_store_dword v12, v0, s[0:1] offset:2048
	s_waitcnt lgkmcnt(0)
	v_add_f32_e32 v0, 0, v8
	global_store_dword v12, v4, s[0:1] offset:1024
	v_add_f32_e32 v4, v0, v9
	ds_read_b128 v[0:3], v16 offset:320
	v_add_f32_e32 v4, v4, v10
	v_add_f32_e32 v4, v4, v11
	global_store_dword v12, v4, s[0:1] offset:3072
	ds_read_b128 v[4:7], v16 offset:336
	s_waitcnt lgkmcnt(1)
	v_add_f32_e32 v0, 0, v0
	v_add_f32_e32 v0, v0, v1
	;; [unrolled: 1-line block ×4, first 2 shown]
	v_mov_b32_e32 v8, 0x5000
	global_store_dword v8, v0, s[0:1]
	s_waitcnt lgkmcnt(0)
	v_add_f32_e32 v0, 0, v4
	v_add_f32_e32 v4, v0, v5
	ds_read_b128 v[0:3], v16 offset:352
	v_add_f32_e32 v4, v4, v6
	v_add_f32_e32 v4, v4, v7
	global_store_dword v8, v4, s[0:1] offset:1024
	ds_read_b128 v[4:7], v16 offset:368
	s_waitcnt lgkmcnt(1)
	v_add_f32_e32 v0, 0, v0
	v_add_f32_e32 v0, v0, v1
	;; [unrolled: 1-line block ×4, first 2 shown]
	global_store_dword v8, v0, s[0:1] offset:2048
	s_waitcnt lgkmcnt(0)
	v_add_f32_e32 v0, 0, v4
	v_add_f32_e32 v4, v0, v5
	ds_read_b128 v[0:3], v16 offset:384
	v_add_f32_e32 v4, v4, v6
	v_add_f32_e32 v4, v4, v7
	global_store_dword v8, v4, s[0:1] offset:3072
	ds_read_b128 v[4:7], v16 offset:400
	s_waitcnt lgkmcnt(1)
	v_add_f32_e32 v0, 0, v0
	v_add_f32_e32 v0, v0, v1
	v_add_f32_e32 v0, v0, v2
	v_add_f32_e32 v0, v0, v3
	v_mov_b32_e32 v12, 0x6000
	global_store_dword v12, v0, s[0:1]
	s_waitcnt lgkmcnt(0)
	v_add_f32_e32 v0, 0, v4
	v_add_f32_e32 v0, v0, v5
	;; [unrolled: 1-line block ×3, first 2 shown]
	ds_read_b128 v[0:3], v16 offset:416
	v_add_f32_e32 v4, v4, v7
	global_store_dword v12, v4, s[0:1] offset:1024
	ds_read_b128 v[4:7], v16 offset:432
	ds_read_b128 v[8:11], v16 offset:448
	s_waitcnt lgkmcnt(2)
	v_add_f32_e32 v0, 0, v0
	v_add_f32_e32 v0, v0, v1
	;; [unrolled: 1-line block ×4, first 2 shown]
	global_store_dword v12, v0, s[0:1] offset:2048
	s_waitcnt lgkmcnt(1)
	v_add_f32_e32 v0, 0, v4
	v_add_f32_e32 v0, v0, v5
	v_add_f32_e32 v0, v0, v6
	v_add_f32_e32 v0, v0, v7
	global_store_dword v12, v0, s[0:1] offset:3072
	s_waitcnt lgkmcnt(0)
	v_add_f32_e32 v0, 0, v8
	v_add_f32_e32 v0, v0, v9
	v_add_f32_e32 v0, v0, v10
	v_add_f32_e32 v0, v0, v11
	v_mov_b32_e32 v1, 0x7000
	global_store_dword v1, v0, s[0:1]
.LBB28_62:
	s_endpgm
	.section	.rodata,"a",@progbits
	.p2align	6, 0x0
	.amdhsa_kernel _Z23fp32_router_gemm_kernelIfLi128ELi29ELi256ELi3072EEvPfPKT_PKf
		.amdhsa_group_segment_fixed_size 464
		.amdhsa_private_segment_fixed_size 0
		.amdhsa_kernarg_size 24
		.amdhsa_user_sgpr_count 6
		.amdhsa_user_sgpr_private_segment_buffer 1
		.amdhsa_user_sgpr_dispatch_ptr 0
		.amdhsa_user_sgpr_queue_ptr 0
		.amdhsa_user_sgpr_kernarg_segment_ptr 1
		.amdhsa_user_sgpr_dispatch_id 0
		.amdhsa_user_sgpr_flat_scratch_init 0
		.amdhsa_user_sgpr_kernarg_preload_length 0
		.amdhsa_user_sgpr_kernarg_preload_offset 0
		.amdhsa_user_sgpr_private_segment_size 0
		.amdhsa_uses_dynamic_stack 0
		.amdhsa_system_sgpr_private_segment_wavefront_offset 0
		.amdhsa_system_sgpr_workgroup_id_x 1
		.amdhsa_system_sgpr_workgroup_id_y 0
		.amdhsa_system_sgpr_workgroup_id_z 0
		.amdhsa_system_sgpr_workgroup_info 0
		.amdhsa_system_vgpr_workitem_id 0
		.amdhsa_next_free_vgpr 60
		.amdhsa_next_free_sgpr 38
		.amdhsa_accum_offset 60
		.amdhsa_reserve_vcc 1
		.amdhsa_reserve_flat_scratch 0
		.amdhsa_float_round_mode_32 0
		.amdhsa_float_round_mode_16_64 0
		.amdhsa_float_denorm_mode_32 3
		.amdhsa_float_denorm_mode_16_64 3
		.amdhsa_dx10_clamp 1
		.amdhsa_ieee_mode 1
		.amdhsa_fp16_overflow 0
		.amdhsa_tg_split 0
		.amdhsa_exception_fp_ieee_invalid_op 0
		.amdhsa_exception_fp_denorm_src 0
		.amdhsa_exception_fp_ieee_div_zero 0
		.amdhsa_exception_fp_ieee_overflow 0
		.amdhsa_exception_fp_ieee_underflow 0
		.amdhsa_exception_fp_ieee_inexact 0
		.amdhsa_exception_int_div_zero 0
	.end_amdhsa_kernel
	.section	.text._Z23fp32_router_gemm_kernelIfLi128ELi29ELi256ELi3072EEvPfPKT_PKf,"axG",@progbits,_Z23fp32_router_gemm_kernelIfLi128ELi29ELi256ELi3072EEvPfPKT_PKf,comdat
.Lfunc_end28:
	.size	_Z23fp32_router_gemm_kernelIfLi128ELi29ELi256ELi3072EEvPfPKT_PKf, .Lfunc_end28-_Z23fp32_router_gemm_kernelIfLi128ELi29ELi256ELi3072EEvPfPKT_PKf
                                        ; -- End function
	.section	.AMDGPU.csdata,"",@progbits
; Kernel info:
; codeLenInByte = 5732
; NumSgprs: 42
; NumVgprs: 60
; NumAgprs: 0
; TotalNumVgprs: 60
; ScratchSize: 0
; MemoryBound: 0
; FloatMode: 240
; IeeeMode: 1
; LDSByteSize: 464 bytes/workgroup (compile time only)
; SGPRBlocks: 5
; VGPRBlocks: 7
; NumSGPRsForWavesPerEU: 42
; NumVGPRsForWavesPerEU: 60
; AccumOffset: 60
; Occupancy: 8
; WaveLimiterHint : 1
; COMPUTE_PGM_RSRC2:SCRATCH_EN: 0
; COMPUTE_PGM_RSRC2:USER_SGPR: 6
; COMPUTE_PGM_RSRC2:TRAP_HANDLER: 0
; COMPUTE_PGM_RSRC2:TGID_X_EN: 1
; COMPUTE_PGM_RSRC2:TGID_Y_EN: 0
; COMPUTE_PGM_RSRC2:TGID_Z_EN: 0
; COMPUTE_PGM_RSRC2:TIDIG_COMP_CNT: 0
; COMPUTE_PGM_RSRC3_GFX90A:ACCUM_OFFSET: 14
; COMPUTE_PGM_RSRC3_GFX90A:TG_SPLIT: 0
	.section	.text._Z23fp32_router_gemm_kernelIfLi128ELi30ELi256ELi3072EEvPfPKT_PKf,"axG",@progbits,_Z23fp32_router_gemm_kernelIfLi128ELi30ELi256ELi3072EEvPfPKT_PKf,comdat
	.protected	_Z23fp32_router_gemm_kernelIfLi128ELi30ELi256ELi3072EEvPfPKT_PKf ; -- Begin function _Z23fp32_router_gemm_kernelIfLi128ELi30ELi256ELi3072EEvPfPKT_PKf
	.globl	_Z23fp32_router_gemm_kernelIfLi128ELi30ELi256ELi3072EEvPfPKT_PKf
	.p2align	8
	.type	_Z23fp32_router_gemm_kernelIfLi128ELi30ELi256ELi3072EEvPfPKT_PKf,@function
_Z23fp32_router_gemm_kernelIfLi128ELi30ELi256ELi3072EEvPfPKT_PKf: ; @_Z23fp32_router_gemm_kernelIfLi128ELi30ELi256ELi3072EEvPfPKT_PKf
; %bb.0:
	s_load_dwordx4 s[0:3], s[4:5], 0x0
	s_load_dwordx2 s[8:9], s[4:5], 0x10
	s_mul_i32 s4, s6, 0xc00
	s_ashr_i32 s5, s4, 31
	s_lshl_b64 s[4:5], s[4:5], 2
	v_lshlrev_b32_e32 v2, 2, v0
	s_waitcnt lgkmcnt(0)
	s_add_u32 s4, s8, s4
	v_or_b32_e32 v1, 0x200, v2
	v_or_b32_e32 v4, 0x400, v2
	;; [unrolled: 1-line block ×3, first 2 shown]
	s_addc_u32 s5, s9, s5
	s_mov_b64 s[8:9], 0
	v_mov_b32_e32 v44, 0
	v_mov_b32_e32 v45, s3
	s_movk_i32 s7, 0x3000
	s_movk_i32 s10, 0x6000
	s_mov_b32 s11, 0x9000
	s_mov_b32 s12, 0xc000
	;; [unrolled: 1-line block ×27, first 2 shown]
	v_mov_b32_e32 v43, 0
	v_mov_b32_e32 v42, 0
	;; [unrolled: 1-line block ×29, first 2 shown]
	v_or_b32_e32 v6, 0x800, v2
	v_or_b32_e32 v5, 0xa00, v2
.LBB29_1:                               ; =>This Inner Loop Header: Depth=1
	s_cmp_eq_u32 s8, 1
	s_cselect_b64 vcc, -1, 0
	s_cmp_eq_u32 s8, 2
	v_cndmask_b32_e32 v8, v2, v1, vcc
	s_cselect_b64 vcc, -1, 0
	s_cmp_eq_u32 s8, 3
	v_cndmask_b32_e32 v8, v8, v4, vcc
	;; [unrolled: 3-line block ×4, first 2 shown]
	s_cselect_b64 vcc, -1, 0
	v_cndmask_b32_e32 v8, v8, v5, vcc
	v_lshlrev_b32_e32 v47, 2, v8
	v_add_co_u32_e32 v60, vcc, s2, v47
	v_addc_co_u32_e32 v46, vcc, 0, v45, vcc
	v_add_co_u32_e32 v56, vcc, s7, v60
	v_addc_co_u32_e32 v57, vcc, 0, v46, vcc
	;; [unrolled: 2-line block ×3, first 2 shown]
	global_load_dwordx4 v[48:51], v[56:57], off
	global_load_dwordx4 v[52:55], v[58:59], off
	global_load_dwordx4 v[8:11], v47, s[4:5]
	global_load_dwordx4 v[12:15], v47, s[2:3]
	v_add_co_u32_e32 v56, vcc, s11, v60
	v_addc_co_u32_e32 v57, vcc, 0, v46, vcc
	v_add_co_u32_e32 v58, vcc, s12, v60
	v_addc_co_u32_e32 v59, vcc, 0, v46, vcc
	s_add_u32 s8, s8, 1
	s_addc_u32 s9, s9, 0
	s_cmp_eq_u32 s8, 6
	s_waitcnt vmcnt(1)
	v_fmac_f32_e32 v43, v48, v8
	v_fmac_f32_e32 v42, v52, v8
	;; [unrolled: 1-line block ×8, first 2 shown]
	global_load_dwordx4 v[48:51], v[56:57], off
	global_load_dwordx4 v[52:55], v[58:59], off
	v_add_co_u32_e32 v56, vcc, s13, v60
	v_addc_co_u32_e32 v57, vcc, 0, v46, vcc
	v_add_co_u32_e32 v58, vcc, s14, v60
	v_addc_co_u32_e32 v59, vcc, 0, v46, vcc
	s_waitcnt vmcnt(1)
	v_fmac_f32_e32 v41, v48, v8
	s_waitcnt vmcnt(0)
	v_fmac_f32_e32 v40, v52, v8
	v_fmac_f32_e32 v41, v49, v9
	v_fmac_f32_e32 v40, v53, v9
	v_fmac_f32_e32 v41, v50, v10
	v_fmac_f32_e32 v40, v54, v10
	v_fmac_f32_e32 v41, v51, v11
	v_fmac_f32_e32 v40, v55, v11
	global_load_dwordx4 v[48:51], v[56:57], off
	global_load_dwordx4 v[52:55], v[58:59], off
	v_add_co_u32_e32 v56, vcc, s15, v60
	v_addc_co_u32_e32 v57, vcc, 0, v46, vcc
	v_add_co_u32_e32 v58, vcc, s16, v60
	v_addc_co_u32_e32 v59, vcc, 0, v46, vcc
	s_waitcnt vmcnt(1)
	v_fmac_f32_e32 v39, v48, v8
	s_waitcnt vmcnt(0)
	v_fmac_f32_e32 v38, v52, v8
	v_fmac_f32_e32 v39, v49, v9
	v_fmac_f32_e32 v38, v53, v9
	v_fmac_f32_e32 v39, v50, v10
	v_fmac_f32_e32 v38, v54, v10
	v_fmac_f32_e32 v39, v51, v11
	v_fmac_f32_e32 v38, v55, v11
	;; [unrolled: 16-line block ×12, first 2 shown]
	global_load_dwordx4 v[48:51], v[56:57], off
	global_load_dwordx4 v[52:55], v[58:59], off
	s_waitcnt vmcnt(1)
	v_fmac_f32_e32 v17, v48, v8
	v_add_co_u32_e32 v48, vcc, s38, v60
	v_fmac_f32_e32 v17, v49, v9
	v_addc_co_u32_e32 v49, vcc, 0, v46, vcc
	global_load_dwordx4 v[46:49], v[48:49], off
	s_waitcnt vmcnt(1)
	v_fmac_f32_e32 v16, v52, v8
	v_fmac_f32_e32 v16, v53, v9
	;; [unrolled: 1-line block ×6, first 2 shown]
	s_waitcnt vmcnt(0)
	v_fmac_f32_e32 v7, v46, v8
	v_fmac_f32_e32 v7, v47, v9
	v_pk_mul_f32 v[8:9], v[12:13], v[8:9]
	v_fmac_f32_e32 v7, v48, v10
	v_add_f32_e32 v8, v8, v44
	v_fmac_f32_e32 v7, v49, v11
	v_pk_mul_f32 v[10:11], v[14:15], v[10:11]
	v_add_f32_e32 v8, v9, v8
	v_add_f32_e32 v8, v10, v8
	;; [unrolled: 1-line block ×3, first 2 shown]
	s_cbranch_scc0 .LBB29_1
; %bb.2:
	v_mbcnt_lo_u32_b32 v1, -1, 0
	v_mbcnt_hi_u32_b32 v5, -1, v1
	v_and_b32_e32 v2, 64, v5
	v_xor_b32_e32 v1, 16, v5
	v_add_u32_e32 v6, 64, v2
	v_cmp_lt_i32_e32 vcc, v1, v6
	v_cndmask_b32_e32 v1, v5, v1, vcc
	v_lshlrev_b32_e32 v1, 2, v1
	ds_bpermute_b32 v3, v1, v44
	v_xor_b32_e32 v2, 8, v5
	v_cmp_lt_i32_e32 vcc, v2, v6
	v_cndmask_b32_e32 v2, v5, v2, vcc
	v_lshlrev_b32_e32 v2, 2, v2
	s_waitcnt lgkmcnt(0)
	v_add_f32_e32 v4, v44, v3
	ds_bpermute_b32 v8, v2, v4
	v_xor_b32_e32 v3, 4, v5
	v_cmp_lt_i32_e32 vcc, v3, v6
	v_cndmask_b32_e32 v3, v5, v3, vcc
	v_lshlrev_b32_e32 v3, 2, v3
	s_waitcnt lgkmcnt(0)
	v_add_f32_e32 v8, v4, v8
	;; [unrolled: 7-line block ×4, first 2 shown]
	ds_bpermute_b32 v9, v6, v8
	v_lshrrev_b32_e32 v5, 5, v0
	v_and_b32_e32 v10, 31, v0
	v_cmp_eq_u32_e32 vcc, 0, v10
	v_lshlrev_b32_e32 v5, 2, v5
	s_and_saveexec_b64 s[2:3], vcc
	s_cbranch_execz .LBB29_4
; %bb.3:
	s_waitcnt lgkmcnt(0)
	v_add_f32_e32 v8, v8, v9
	ds_write_b32 v5, v8
.LBB29_4:
	s_or_b64 exec, exec, s[2:3]
	ds_bpermute_b32 v8, v1, v43
	s_waitcnt lgkmcnt(0)
	v_add_f32_e32 v8, v43, v8
	ds_bpermute_b32 v9, v2, v8
	s_waitcnt lgkmcnt(0)
	v_add_f32_e32 v8, v8, v9
	ds_bpermute_b32 v9, v3, v8
	s_waitcnt lgkmcnt(0)
	v_add_f32_e32 v8, v8, v9
	ds_bpermute_b32 v9, v4, v8
	s_waitcnt lgkmcnt(0)
	v_add_f32_e32 v8, v8, v9
	ds_bpermute_b32 v9, v6, v8
	s_and_saveexec_b64 s[2:3], vcc
	s_cbranch_execz .LBB29_6
; %bb.5:
	s_waitcnt lgkmcnt(0)
	v_add_f32_e32 v8, v8, v9
	ds_write_b32 v5, v8 offset:16
.LBB29_6:
	s_or_b64 exec, exec, s[2:3]
	ds_bpermute_b32 v8, v1, v42
	s_waitcnt lgkmcnt(0)
	v_add_f32_e32 v8, v42, v8
	ds_bpermute_b32 v9, v2, v8
	s_waitcnt lgkmcnt(0)
	v_add_f32_e32 v8, v8, v9
	ds_bpermute_b32 v9, v3, v8
	s_waitcnt lgkmcnt(0)
	v_add_f32_e32 v8, v8, v9
	ds_bpermute_b32 v9, v4, v8
	s_waitcnt lgkmcnt(0)
	v_add_f32_e32 v8, v8, v9
	ds_bpermute_b32 v9, v6, v8
	s_and_saveexec_b64 s[2:3], vcc
	s_cbranch_execz .LBB29_8
; %bb.7:
	s_waitcnt lgkmcnt(0)
	v_add_f32_e32 v8, v8, v9
	ds_write_b32 v5, v8 offset:32
.LBB29_8:
	;; [unrolled: 21-line block ×29, first 2 shown]
	s_or_b64 exec, exec, s[2:3]
	v_cmp_eq_u32_e32 vcc, 0, v0
	s_waitcnt lgkmcnt(0)
	s_barrier
	s_and_saveexec_b64 s[2:3], vcc
	s_cbranch_execz .LBB29_64
; %bb.63:
	v_mov_b32_e32 v16, 0
	ds_read_b128 v[0:3], v16
	s_ashr_i32 s7, s6, 31
	ds_read_b128 v[4:7], v16 offset:16
	ds_read_b128 v[8:11], v16 offset:32
	;; [unrolled: 1-line block ×3, first 2 shown]
	s_lshl_b64 s[2:3], s[6:7], 2
	s_add_u32 s0, s0, s2
	s_waitcnt lgkmcnt(3)
	v_add_f32_e32 v0, 0, v0
	v_add_f32_e32 v0, v0, v1
	;; [unrolled: 1-line block ×4, first 2 shown]
	s_addc_u32 s1, s1, s3
	global_store_dword v16, v0, s[0:1]
	s_waitcnt lgkmcnt(2)
	v_add_f32_e32 v0, 0, v4
	v_add_f32_e32 v0, v0, v5
	;; [unrolled: 1-line block ×4, first 2 shown]
	global_store_dword v16, v0, s[0:1] offset:1024
	s_waitcnt lgkmcnt(1)
	v_add_f32_e32 v0, 0, v8
	v_add_f32_e32 v0, v0, v9
	;; [unrolled: 1-line block ×4, first 2 shown]
	global_store_dword v16, v0, s[0:1] offset:2048
	s_waitcnt lgkmcnt(0)
	v_add_f32_e32 v0, 0, v12
	v_add_f32_e32 v4, v0, v13
	ds_read_b128 v[0:3], v16 offset:64
	v_add_f32_e32 v4, v4, v14
	v_add_f32_e32 v4, v4, v15
	global_store_dword v16, v4, s[0:1] offset:3072
	ds_read_b128 v[4:7], v16 offset:80
	s_waitcnt lgkmcnt(1)
	v_add_f32_e32 v0, 0, v0
	v_add_f32_e32 v0, v0, v1
	;; [unrolled: 1-line block ×4, first 2 shown]
	v_mov_b32_e32 v8, 0x1000
	global_store_dword v8, v0, s[0:1]
	s_waitcnt lgkmcnt(0)
	v_add_f32_e32 v0, 0, v4
	v_add_f32_e32 v4, v0, v5
	ds_read_b128 v[0:3], v16 offset:96
	v_add_f32_e32 v4, v4, v6
	v_add_f32_e32 v4, v4, v7
	global_store_dword v8, v4, s[0:1] offset:1024
	ds_read_b128 v[4:7], v16 offset:112
	s_waitcnt lgkmcnt(1)
	v_add_f32_e32 v0, 0, v0
	v_add_f32_e32 v0, v0, v1
	;; [unrolled: 1-line block ×4, first 2 shown]
	global_store_dword v8, v0, s[0:1] offset:2048
	s_waitcnt lgkmcnt(0)
	v_add_f32_e32 v0, 0, v4
	v_add_f32_e32 v4, v0, v5
	ds_read_b128 v[0:3], v16 offset:128
	v_add_f32_e32 v4, v4, v6
	v_add_f32_e32 v4, v4, v7
	global_store_dword v8, v4, s[0:1] offset:3072
	ds_read_b128 v[4:7], v16 offset:144
	s_waitcnt lgkmcnt(1)
	v_add_f32_e32 v0, 0, v0
	v_add_f32_e32 v0, v0, v1
	;; [unrolled: 1-line block ×4, first 2 shown]
	v_mov_b32_e32 v12, 0x2000
	global_store_dword v12, v0, s[0:1]
	ds_read_b128 v[0:3], v16 offset:160
	ds_read_b128 v[8:11], v16 offset:176
	s_waitcnt lgkmcnt(2)
	v_add_f32_e32 v4, 0, v4
	v_add_f32_e32 v4, v4, v5
	;; [unrolled: 1-line block ×3, first 2 shown]
	s_waitcnt lgkmcnt(1)
	v_add_f32_e32 v0, 0, v0
	v_add_f32_e32 v0, v0, v1
	;; [unrolled: 1-line block ×5, first 2 shown]
	global_store_dword v12, v0, s[0:1] offset:2048
	s_waitcnt lgkmcnt(0)
	v_add_f32_e32 v0, 0, v8
	global_store_dword v12, v4, s[0:1] offset:1024
	v_add_f32_e32 v4, v0, v9
	ds_read_b128 v[0:3], v16 offset:192
	v_add_f32_e32 v4, v4, v10
	v_add_f32_e32 v4, v4, v11
	global_store_dword v12, v4, s[0:1] offset:3072
	ds_read_b128 v[4:7], v16 offset:208
	s_waitcnt lgkmcnt(1)
	v_add_f32_e32 v0, 0, v0
	v_add_f32_e32 v0, v0, v1
	;; [unrolled: 1-line block ×4, first 2 shown]
	v_mov_b32_e32 v8, 0x3000
	global_store_dword v8, v0, s[0:1]
	s_waitcnt lgkmcnt(0)
	v_add_f32_e32 v0, 0, v4
	v_add_f32_e32 v4, v0, v5
	ds_read_b128 v[0:3], v16 offset:224
	v_add_f32_e32 v4, v4, v6
	v_add_f32_e32 v4, v4, v7
	global_store_dword v8, v4, s[0:1] offset:1024
	ds_read_b128 v[4:7], v16 offset:240
	s_waitcnt lgkmcnt(1)
	v_add_f32_e32 v0, 0, v0
	v_add_f32_e32 v0, v0, v1
	;; [unrolled: 1-line block ×4, first 2 shown]
	global_store_dword v8, v0, s[0:1] offset:2048
	s_waitcnt lgkmcnt(0)
	v_add_f32_e32 v0, 0, v4
	v_add_f32_e32 v4, v0, v5
	ds_read_b128 v[0:3], v16 offset:256
	v_add_f32_e32 v4, v4, v6
	v_add_f32_e32 v4, v4, v7
	global_store_dword v8, v4, s[0:1] offset:3072
	ds_read_b128 v[4:7], v16 offset:272
	s_waitcnt lgkmcnt(1)
	v_add_f32_e32 v0, 0, v0
	v_add_f32_e32 v0, v0, v1
	;; [unrolled: 1-line block ×4, first 2 shown]
	v_mov_b32_e32 v12, 0x4000
	global_store_dword v12, v0, s[0:1]
	ds_read_b128 v[0:3], v16 offset:288
	ds_read_b128 v[8:11], v16 offset:304
	s_waitcnt lgkmcnt(2)
	v_add_f32_e32 v4, 0, v4
	v_add_f32_e32 v4, v4, v5
	;; [unrolled: 1-line block ×3, first 2 shown]
	s_waitcnt lgkmcnt(1)
	v_add_f32_e32 v0, 0, v0
	v_add_f32_e32 v0, v0, v1
	;; [unrolled: 1-line block ×5, first 2 shown]
	global_store_dword v12, v0, s[0:1] offset:2048
	s_waitcnt lgkmcnt(0)
	v_add_f32_e32 v0, 0, v8
	global_store_dword v12, v4, s[0:1] offset:1024
	v_add_f32_e32 v4, v0, v9
	ds_read_b128 v[0:3], v16 offset:320
	v_add_f32_e32 v4, v4, v10
	v_add_f32_e32 v4, v4, v11
	global_store_dword v12, v4, s[0:1] offset:3072
	ds_read_b128 v[4:7], v16 offset:336
	s_waitcnt lgkmcnt(1)
	v_add_f32_e32 v0, 0, v0
	v_add_f32_e32 v0, v0, v1
	;; [unrolled: 1-line block ×4, first 2 shown]
	v_mov_b32_e32 v8, 0x5000
	global_store_dword v8, v0, s[0:1]
	s_waitcnt lgkmcnt(0)
	v_add_f32_e32 v0, 0, v4
	v_add_f32_e32 v4, v0, v5
	ds_read_b128 v[0:3], v16 offset:352
	v_add_f32_e32 v4, v4, v6
	v_add_f32_e32 v4, v4, v7
	global_store_dword v8, v4, s[0:1] offset:1024
	ds_read_b128 v[4:7], v16 offset:368
	s_waitcnt lgkmcnt(1)
	v_add_f32_e32 v0, 0, v0
	v_add_f32_e32 v0, v0, v1
	;; [unrolled: 1-line block ×4, first 2 shown]
	global_store_dword v8, v0, s[0:1] offset:2048
	s_waitcnt lgkmcnt(0)
	v_add_f32_e32 v0, 0, v4
	v_add_f32_e32 v4, v0, v5
	ds_read_b128 v[0:3], v16 offset:384
	v_add_f32_e32 v4, v4, v6
	v_add_f32_e32 v4, v4, v7
	global_store_dword v8, v4, s[0:1] offset:3072
	ds_read_b128 v[4:7], v16 offset:400
	s_waitcnt lgkmcnt(1)
	v_add_f32_e32 v0, 0, v0
	v_add_f32_e32 v0, v0, v1
	;; [unrolled: 1-line block ×4, first 2 shown]
	v_mov_b32_e32 v17, 0x6000
	global_store_dword v17, v0, s[0:1]
	s_waitcnt lgkmcnt(0)
	v_add_f32_e32 v0, 0, v4
	v_add_f32_e32 v0, v0, v5
	;; [unrolled: 1-line block ×4, first 2 shown]
	ds_read_b128 v[0:3], v16 offset:416
	global_store_dword v17, v4, s[0:1] offset:1024
	ds_read_b128 v[4:7], v16 offset:432
	ds_read_b128 v[8:11], v16 offset:448
	;; [unrolled: 1-line block ×3, first 2 shown]
	s_waitcnt lgkmcnt(3)
	v_add_f32_e32 v0, 0, v0
	v_add_f32_e32 v0, v0, v1
	v_add_f32_e32 v0, v0, v2
	v_add_f32_e32 v0, v0, v3
	global_store_dword v17, v0, s[0:1] offset:2048
	s_waitcnt lgkmcnt(2)
	v_add_f32_e32 v0, 0, v4
	v_add_f32_e32 v0, v0, v5
	;; [unrolled: 1-line block ×4, first 2 shown]
	global_store_dword v17, v0, s[0:1] offset:3072
	s_waitcnt lgkmcnt(1)
	v_add_f32_e32 v0, 0, v8
	v_add_f32_e32 v0, v0, v9
	;; [unrolled: 1-line block ×4, first 2 shown]
	v_mov_b32_e32 v1, 0x7000
	global_store_dword v1, v0, s[0:1]
	s_waitcnt lgkmcnt(0)
	v_add_f32_e32 v0, 0, v12
	v_add_f32_e32 v0, v0, v13
	v_add_f32_e32 v0, v0, v14
	v_add_f32_e32 v0, v0, v15
	global_store_dword v1, v0, s[0:1] offset:1024
.LBB29_64:
	s_endpgm
	.section	.rodata,"a",@progbits
	.p2align	6, 0x0
	.amdhsa_kernel _Z23fp32_router_gemm_kernelIfLi128ELi30ELi256ELi3072EEvPfPKT_PKf
		.amdhsa_group_segment_fixed_size 480
		.amdhsa_private_segment_fixed_size 0
		.amdhsa_kernarg_size 24
		.amdhsa_user_sgpr_count 6
		.amdhsa_user_sgpr_private_segment_buffer 1
		.amdhsa_user_sgpr_dispatch_ptr 0
		.amdhsa_user_sgpr_queue_ptr 0
		.amdhsa_user_sgpr_kernarg_segment_ptr 1
		.amdhsa_user_sgpr_dispatch_id 0
		.amdhsa_user_sgpr_flat_scratch_init 0
		.amdhsa_user_sgpr_kernarg_preload_length 0
		.amdhsa_user_sgpr_kernarg_preload_offset 0
		.amdhsa_user_sgpr_private_segment_size 0
		.amdhsa_uses_dynamic_stack 0
		.amdhsa_system_sgpr_private_segment_wavefront_offset 0
		.amdhsa_system_sgpr_workgroup_id_x 1
		.amdhsa_system_sgpr_workgroup_id_y 0
		.amdhsa_system_sgpr_workgroup_id_z 0
		.amdhsa_system_sgpr_workgroup_info 0
		.amdhsa_system_vgpr_workitem_id 0
		.amdhsa_next_free_vgpr 61
		.amdhsa_next_free_sgpr 39
		.amdhsa_accum_offset 64
		.amdhsa_reserve_vcc 1
		.amdhsa_reserve_flat_scratch 0
		.amdhsa_float_round_mode_32 0
		.amdhsa_float_round_mode_16_64 0
		.amdhsa_float_denorm_mode_32 3
		.amdhsa_float_denorm_mode_16_64 3
		.amdhsa_dx10_clamp 1
		.amdhsa_ieee_mode 1
		.amdhsa_fp16_overflow 0
		.amdhsa_tg_split 0
		.amdhsa_exception_fp_ieee_invalid_op 0
		.amdhsa_exception_fp_denorm_src 0
		.amdhsa_exception_fp_ieee_div_zero 0
		.amdhsa_exception_fp_ieee_overflow 0
		.amdhsa_exception_fp_ieee_underflow 0
		.amdhsa_exception_fp_ieee_inexact 0
		.amdhsa_exception_int_div_zero 0
	.end_amdhsa_kernel
	.section	.text._Z23fp32_router_gemm_kernelIfLi128ELi30ELi256ELi3072EEvPfPKT_PKf,"axG",@progbits,_Z23fp32_router_gemm_kernelIfLi128ELi30ELi256ELi3072EEvPfPKT_PKf,comdat
.Lfunc_end29:
	.size	_Z23fp32_router_gemm_kernelIfLi128ELi30ELi256ELi3072EEvPfPKT_PKf, .Lfunc_end29-_Z23fp32_router_gemm_kernelIfLi128ELi30ELi256ELi3072EEvPfPKT_PKf
                                        ; -- End function
	.section	.AMDGPU.csdata,"",@progbits
; Kernel info:
; codeLenInByte = 5916
; NumSgprs: 43
; NumVgprs: 61
; NumAgprs: 0
; TotalNumVgprs: 61
; ScratchSize: 0
; MemoryBound: 0
; FloatMode: 240
; IeeeMode: 1
; LDSByteSize: 480 bytes/workgroup (compile time only)
; SGPRBlocks: 5
; VGPRBlocks: 7
; NumSGPRsForWavesPerEU: 43
; NumVGPRsForWavesPerEU: 61
; AccumOffset: 64
; Occupancy: 8
; WaveLimiterHint : 1
; COMPUTE_PGM_RSRC2:SCRATCH_EN: 0
; COMPUTE_PGM_RSRC2:USER_SGPR: 6
; COMPUTE_PGM_RSRC2:TRAP_HANDLER: 0
; COMPUTE_PGM_RSRC2:TGID_X_EN: 1
; COMPUTE_PGM_RSRC2:TGID_Y_EN: 0
; COMPUTE_PGM_RSRC2:TGID_Z_EN: 0
; COMPUTE_PGM_RSRC2:TIDIG_COMP_CNT: 0
; COMPUTE_PGM_RSRC3_GFX90A:ACCUM_OFFSET: 15
; COMPUTE_PGM_RSRC3_GFX90A:TG_SPLIT: 0
	.section	.text._Z23fp32_router_gemm_kernelIfLi128ELi31ELi256ELi3072EEvPfPKT_PKf,"axG",@progbits,_Z23fp32_router_gemm_kernelIfLi128ELi31ELi256ELi3072EEvPfPKT_PKf,comdat
	.protected	_Z23fp32_router_gemm_kernelIfLi128ELi31ELi256ELi3072EEvPfPKT_PKf ; -- Begin function _Z23fp32_router_gemm_kernelIfLi128ELi31ELi256ELi3072EEvPfPKT_PKf
	.globl	_Z23fp32_router_gemm_kernelIfLi128ELi31ELi256ELi3072EEvPfPKT_PKf
	.p2align	8
	.type	_Z23fp32_router_gemm_kernelIfLi128ELi31ELi256ELi3072EEvPfPKT_PKf,@function
_Z23fp32_router_gemm_kernelIfLi128ELi31ELi256ELi3072EEvPfPKT_PKf: ; @_Z23fp32_router_gemm_kernelIfLi128ELi31ELi256ELi3072EEvPfPKT_PKf
; %bb.0:
	s_load_dwordx4 s[0:3], s[4:5], 0x0
	s_load_dwordx2 s[8:9], s[4:5], 0x10
	s_mul_i32 s4, s6, 0xc00
	s_ashr_i32 s5, s4, 31
	s_lshl_b64 s[4:5], s[4:5], 2
	v_lshlrev_b32_e32 v2, 2, v0
	s_waitcnt lgkmcnt(0)
	s_add_u32 s4, s8, s4
	v_or_b32_e32 v1, 0x200, v2
	v_or_b32_e32 v4, 0x400, v2
	;; [unrolled: 1-line block ×3, first 2 shown]
	s_addc_u32 s5, s9, s5
	s_mov_b64 s[8:9], 0
	v_mov_b32_e32 v45, 0
	v_mov_b32_e32 v46, s3
	s_movk_i32 s7, 0x3000
	s_movk_i32 s10, 0x6000
	s_mov_b32 s11, 0x9000
	s_mov_b32 s12, 0xc000
	;; [unrolled: 1-line block ×28, first 2 shown]
	v_mov_b32_e32 v44, 0
	v_mov_b32_e32 v43, 0
	;; [unrolled: 1-line block ×30, first 2 shown]
	v_or_b32_e32 v6, 0x800, v2
	v_or_b32_e32 v5, 0xa00, v2
.LBB30_1:                               ; =>This Inner Loop Header: Depth=1
	s_cmp_eq_u32 s8, 1
	s_cselect_b64 vcc, -1, 0
	s_cmp_eq_u32 s8, 2
	v_cndmask_b32_e32 v8, v2, v1, vcc
	s_cselect_b64 vcc, -1, 0
	s_cmp_eq_u32 s8, 3
	v_cndmask_b32_e32 v8, v8, v4, vcc
	;; [unrolled: 3-line block ×4, first 2 shown]
	s_cselect_b64 vcc, -1, 0
	v_cndmask_b32_e32 v8, v8, v5, vcc
	v_lshlrev_b32_e32 v49, 2, v8
	v_add_co_u32_e32 v48, vcc, s2, v49
	v_addc_co_u32_e32 v47, vcc, 0, v46, vcc
	v_add_co_u32_e32 v58, vcc, s7, v48
	v_addc_co_u32_e32 v59, vcc, 0, v47, vcc
	;; [unrolled: 2-line block ×3, first 2 shown]
	global_load_dwordx4 v[50:53], v[58:59], off
	global_load_dwordx4 v[54:57], v[60:61], off
	global_load_dwordx4 v[8:11], v49, s[4:5]
	global_load_dwordx4 v[12:15], v49, s[2:3]
	v_add_co_u32_e32 v58, vcc, s11, v48
	v_addc_co_u32_e32 v59, vcc, 0, v47, vcc
	v_add_co_u32_e32 v60, vcc, s12, v48
	v_addc_co_u32_e32 v61, vcc, 0, v47, vcc
	s_add_u32 s8, s8, 1
	s_addc_u32 s9, s9, 0
	s_cmp_eq_u32 s8, 6
	s_waitcnt vmcnt(1)
	v_fmac_f32_e32 v44, v50, v8
	v_fmac_f32_e32 v43, v54, v8
	;; [unrolled: 1-line block ×8, first 2 shown]
	global_load_dwordx4 v[50:53], v[58:59], off
	global_load_dwordx4 v[54:57], v[60:61], off
	v_add_co_u32_e32 v58, vcc, s13, v48
	v_addc_co_u32_e32 v59, vcc, 0, v47, vcc
	v_add_co_u32_e32 v60, vcc, s14, v48
	v_addc_co_u32_e32 v61, vcc, 0, v47, vcc
	s_waitcnt vmcnt(1)
	v_fmac_f32_e32 v42, v50, v8
	s_waitcnt vmcnt(0)
	v_fmac_f32_e32 v41, v54, v8
	v_fmac_f32_e32 v42, v51, v9
	v_fmac_f32_e32 v41, v55, v9
	v_fmac_f32_e32 v42, v52, v10
	v_fmac_f32_e32 v41, v56, v10
	v_fmac_f32_e32 v42, v53, v11
	v_fmac_f32_e32 v41, v57, v11
	global_load_dwordx4 v[50:53], v[58:59], off
	global_load_dwordx4 v[54:57], v[60:61], off
	v_add_co_u32_e32 v58, vcc, s15, v48
	v_addc_co_u32_e32 v59, vcc, 0, v47, vcc
	v_add_co_u32_e32 v60, vcc, s16, v48
	v_addc_co_u32_e32 v61, vcc, 0, v47, vcc
	s_waitcnt vmcnt(1)
	v_fmac_f32_e32 v40, v50, v8
	s_waitcnt vmcnt(0)
	v_fmac_f32_e32 v39, v54, v8
	v_fmac_f32_e32 v40, v51, v9
	v_fmac_f32_e32 v39, v55, v9
	v_fmac_f32_e32 v40, v52, v10
	v_fmac_f32_e32 v39, v56, v10
	v_fmac_f32_e32 v40, v53, v11
	v_fmac_f32_e32 v39, v57, v11
	global_load_dwordx4 v[50:53], v[58:59], off
	global_load_dwordx4 v[54:57], v[60:61], off
	v_add_co_u32_e32 v58, vcc, s17, v48
	v_addc_co_u32_e32 v59, vcc, 0, v47, vcc
	v_add_co_u32_e32 v60, vcc, s18, v48
	v_addc_co_u32_e32 v61, vcc, 0, v47, vcc
	s_waitcnt vmcnt(1)
	v_fmac_f32_e32 v38, v50, v8
	s_waitcnt vmcnt(0)
	v_fmac_f32_e32 v37, v54, v8
	v_fmac_f32_e32 v38, v51, v9
	v_fmac_f32_e32 v37, v55, v9
	v_fmac_f32_e32 v38, v52, v10
	v_fmac_f32_e32 v37, v56, v10
	v_fmac_f32_e32 v38, v53, v11
	v_fmac_f32_e32 v37, v57, v11
	global_load_dwordx4 v[50:53], v[58:59], off
	global_load_dwordx4 v[54:57], v[60:61], off
	v_add_co_u32_e32 v58, vcc, s19, v48
	v_addc_co_u32_e32 v59, vcc, 0, v47, vcc
	v_add_co_u32_e32 v60, vcc, s20, v48
	v_addc_co_u32_e32 v61, vcc, 0, v47, vcc
	s_waitcnt vmcnt(1)
	v_fmac_f32_e32 v36, v50, v8
	s_waitcnt vmcnt(0)
	v_fmac_f32_e32 v35, v54, v8
	v_fmac_f32_e32 v36, v51, v9
	v_fmac_f32_e32 v35, v55, v9
	v_fmac_f32_e32 v36, v52, v10
	v_fmac_f32_e32 v35, v56, v10
	v_fmac_f32_e32 v36, v53, v11
	v_fmac_f32_e32 v35, v57, v11
	global_load_dwordx4 v[50:53], v[58:59], off
	global_load_dwordx4 v[54:57], v[60:61], off
	v_add_co_u32_e32 v58, vcc, s21, v48
	v_addc_co_u32_e32 v59, vcc, 0, v47, vcc
	v_add_co_u32_e32 v60, vcc, s22, v48
	v_addc_co_u32_e32 v61, vcc, 0, v47, vcc
	s_waitcnt vmcnt(1)
	v_fmac_f32_e32 v34, v50, v8
	s_waitcnt vmcnt(0)
	v_fmac_f32_e32 v33, v54, v8
	v_fmac_f32_e32 v34, v51, v9
	v_fmac_f32_e32 v33, v55, v9
	v_fmac_f32_e32 v34, v52, v10
	v_fmac_f32_e32 v33, v56, v10
	v_fmac_f32_e32 v34, v53, v11
	v_fmac_f32_e32 v33, v57, v11
	global_load_dwordx4 v[50:53], v[58:59], off
	global_load_dwordx4 v[54:57], v[60:61], off
	v_add_co_u32_e32 v58, vcc, s23, v48
	v_addc_co_u32_e32 v59, vcc, 0, v47, vcc
	v_add_co_u32_e32 v60, vcc, s24, v48
	v_addc_co_u32_e32 v61, vcc, 0, v47, vcc
	s_waitcnt vmcnt(1)
	v_fmac_f32_e32 v32, v50, v8
	s_waitcnt vmcnt(0)
	v_fmac_f32_e32 v31, v54, v8
	v_fmac_f32_e32 v32, v51, v9
	v_fmac_f32_e32 v31, v55, v9
	v_fmac_f32_e32 v32, v52, v10
	v_fmac_f32_e32 v31, v56, v10
	v_fmac_f32_e32 v32, v53, v11
	v_fmac_f32_e32 v31, v57, v11
	global_load_dwordx4 v[50:53], v[58:59], off
	global_load_dwordx4 v[54:57], v[60:61], off
	v_add_co_u32_e32 v58, vcc, s25, v48
	v_addc_co_u32_e32 v59, vcc, 0, v47, vcc
	v_add_co_u32_e32 v60, vcc, s26, v48
	v_addc_co_u32_e32 v61, vcc, 0, v47, vcc
	s_waitcnt vmcnt(1)
	v_fmac_f32_e32 v30, v50, v8
	s_waitcnt vmcnt(0)
	v_fmac_f32_e32 v29, v54, v8
	v_fmac_f32_e32 v30, v51, v9
	v_fmac_f32_e32 v29, v55, v9
	v_fmac_f32_e32 v30, v52, v10
	v_fmac_f32_e32 v29, v56, v10
	v_fmac_f32_e32 v30, v53, v11
	v_fmac_f32_e32 v29, v57, v11
	global_load_dwordx4 v[50:53], v[58:59], off
	global_load_dwordx4 v[54:57], v[60:61], off
	v_add_co_u32_e32 v58, vcc, s27, v48
	v_addc_co_u32_e32 v59, vcc, 0, v47, vcc
	v_add_co_u32_e32 v60, vcc, s28, v48
	v_addc_co_u32_e32 v61, vcc, 0, v47, vcc
	s_waitcnt vmcnt(1)
	v_fmac_f32_e32 v28, v50, v8
	s_waitcnt vmcnt(0)
	v_fmac_f32_e32 v27, v54, v8
	v_fmac_f32_e32 v28, v51, v9
	v_fmac_f32_e32 v27, v55, v9
	v_fmac_f32_e32 v28, v52, v10
	v_fmac_f32_e32 v27, v56, v10
	v_fmac_f32_e32 v28, v53, v11
	v_fmac_f32_e32 v27, v57, v11
	global_load_dwordx4 v[50:53], v[58:59], off
	global_load_dwordx4 v[54:57], v[60:61], off
	v_add_co_u32_e32 v58, vcc, s29, v48
	v_addc_co_u32_e32 v59, vcc, 0, v47, vcc
	v_add_co_u32_e32 v60, vcc, s30, v48
	v_addc_co_u32_e32 v61, vcc, 0, v47, vcc
	s_waitcnt vmcnt(1)
	v_fmac_f32_e32 v26, v50, v8
	s_waitcnt vmcnt(0)
	v_fmac_f32_e32 v25, v54, v8
	v_fmac_f32_e32 v26, v51, v9
	v_fmac_f32_e32 v25, v55, v9
	v_fmac_f32_e32 v26, v52, v10
	v_fmac_f32_e32 v25, v56, v10
	v_fmac_f32_e32 v26, v53, v11
	v_fmac_f32_e32 v25, v57, v11
	global_load_dwordx4 v[50:53], v[58:59], off
	global_load_dwordx4 v[54:57], v[60:61], off
	v_add_co_u32_e32 v58, vcc, s31, v48
	v_addc_co_u32_e32 v59, vcc, 0, v47, vcc
	v_add_co_u32_e32 v60, vcc, s33, v48
	v_addc_co_u32_e32 v61, vcc, 0, v47, vcc
	s_waitcnt vmcnt(1)
	v_fmac_f32_e32 v24, v50, v8
	s_waitcnt vmcnt(0)
	v_fmac_f32_e32 v23, v54, v8
	v_fmac_f32_e32 v24, v51, v9
	v_fmac_f32_e32 v23, v55, v9
	v_fmac_f32_e32 v24, v52, v10
	v_fmac_f32_e32 v23, v56, v10
	v_fmac_f32_e32 v24, v53, v11
	v_fmac_f32_e32 v23, v57, v11
	global_load_dwordx4 v[50:53], v[58:59], off
	global_load_dwordx4 v[54:57], v[60:61], off
	v_add_co_u32_e32 v58, vcc, s34, v48
	v_addc_co_u32_e32 v59, vcc, 0, v47, vcc
	v_add_co_u32_e32 v60, vcc, s35, v48
	v_addc_co_u32_e32 v61, vcc, 0, v47, vcc
	s_waitcnt vmcnt(1)
	v_fmac_f32_e32 v22, v50, v8
	s_waitcnt vmcnt(0)
	v_fmac_f32_e32 v21, v54, v8
	v_fmac_f32_e32 v22, v51, v9
	v_fmac_f32_e32 v21, v55, v9
	v_fmac_f32_e32 v22, v52, v10
	v_fmac_f32_e32 v21, v56, v10
	v_fmac_f32_e32 v22, v53, v11
	v_fmac_f32_e32 v21, v57, v11
	global_load_dwordx4 v[50:53], v[58:59], off
	global_load_dwordx4 v[54:57], v[60:61], off
	v_add_co_u32_e32 v58, vcc, s36, v48
	v_addc_co_u32_e32 v59, vcc, 0, v47, vcc
	v_add_co_u32_e32 v60, vcc, s37, v48
	v_addc_co_u32_e32 v61, vcc, 0, v47, vcc
	s_waitcnt vmcnt(1)
	v_fmac_f32_e32 v20, v50, v8
	s_waitcnt vmcnt(0)
	v_fmac_f32_e32 v19, v54, v8
	v_fmac_f32_e32 v20, v51, v9
	v_fmac_f32_e32 v19, v55, v9
	v_fmac_f32_e32 v20, v52, v10
	v_fmac_f32_e32 v19, v56, v10
	v_fmac_f32_e32 v20, v53, v11
	v_fmac_f32_e32 v19, v57, v11
	global_load_dwordx4 v[50:53], v[58:59], off
	global_load_dwordx4 v[54:57], v[60:61], off
	s_waitcnt vmcnt(1)
	v_fmac_f32_e32 v18, v50, v8
	s_waitcnt vmcnt(0)
	v_fmac_f32_e32 v17, v54, v8
	v_fmac_f32_e32 v17, v55, v9
	;; [unrolled: 1-line block ×3, first 2 shown]
	v_add_co_u32_e32 v56, vcc, s38, v48
	v_fmac_f32_e32 v18, v51, v9
	v_fmac_f32_e32 v17, v57, v11
	v_addc_co_u32_e32 v57, vcc, 0, v47, vcc
	v_fmac_f32_e32 v18, v52, v10
	v_add_co_u32_e32 v58, vcc, s39, v48
	v_fmac_f32_e32 v18, v53, v11
	v_addc_co_u32_e32 v59, vcc, 0, v47, vcc
	global_load_dwordx4 v[48:51], v[56:57], off
	global_load_dwordx4 v[52:55], v[58:59], off
	s_waitcnt vmcnt(1)
	v_fmac_f32_e32 v16, v48, v8
	s_waitcnt vmcnt(0)
	v_fmac_f32_e32 v7, v52, v8
	v_fmac_f32_e32 v16, v49, v9
	v_fmac_f32_e32 v7, v53, v9
	v_pk_mul_f32 v[8:9], v[12:13], v[8:9]
	v_fmac_f32_e32 v16, v50, v10
	v_fmac_f32_e32 v7, v54, v10
	v_add_f32_e32 v8, v8, v45
	v_fmac_f32_e32 v16, v51, v11
	v_fmac_f32_e32 v7, v55, v11
	v_pk_mul_f32 v[10:11], v[14:15], v[10:11]
	v_add_f32_e32 v8, v9, v8
	v_add_f32_e32 v8, v10, v8
	;; [unrolled: 1-line block ×3, first 2 shown]
	s_cbranch_scc0 .LBB30_1
; %bb.2:
	v_mbcnt_lo_u32_b32 v1, -1, 0
	v_mbcnt_hi_u32_b32 v5, -1, v1
	v_and_b32_e32 v2, 64, v5
	v_xor_b32_e32 v1, 16, v5
	v_add_u32_e32 v6, 64, v2
	v_cmp_lt_i32_e32 vcc, v1, v6
	v_cndmask_b32_e32 v1, v5, v1, vcc
	v_lshlrev_b32_e32 v1, 2, v1
	ds_bpermute_b32 v3, v1, v45
	v_xor_b32_e32 v2, 8, v5
	v_cmp_lt_i32_e32 vcc, v2, v6
	v_cndmask_b32_e32 v2, v5, v2, vcc
	v_lshlrev_b32_e32 v2, 2, v2
	s_waitcnt lgkmcnt(0)
	v_add_f32_e32 v4, v45, v3
	ds_bpermute_b32 v8, v2, v4
	v_xor_b32_e32 v3, 4, v5
	v_cmp_lt_i32_e32 vcc, v3, v6
	v_cndmask_b32_e32 v3, v5, v3, vcc
	v_lshlrev_b32_e32 v3, 2, v3
	s_waitcnt lgkmcnt(0)
	v_add_f32_e32 v8, v4, v8
	;; [unrolled: 7-line block ×4, first 2 shown]
	ds_bpermute_b32 v9, v6, v8
	v_lshrrev_b32_e32 v5, 5, v0
	v_and_b32_e32 v10, 31, v0
	v_cmp_eq_u32_e32 vcc, 0, v10
	v_lshlrev_b32_e32 v5, 2, v5
	s_and_saveexec_b64 s[2:3], vcc
	s_cbranch_execz .LBB30_4
; %bb.3:
	s_waitcnt lgkmcnt(0)
	v_add_f32_e32 v8, v8, v9
	ds_write_b32 v5, v8
.LBB30_4:
	s_or_b64 exec, exec, s[2:3]
	ds_bpermute_b32 v8, v1, v44
	s_waitcnt lgkmcnt(0)
	v_add_f32_e32 v8, v44, v8
	ds_bpermute_b32 v9, v2, v8
	s_waitcnt lgkmcnt(0)
	v_add_f32_e32 v8, v8, v9
	ds_bpermute_b32 v9, v3, v8
	s_waitcnt lgkmcnt(0)
	v_add_f32_e32 v8, v8, v9
	ds_bpermute_b32 v9, v4, v8
	s_waitcnt lgkmcnt(0)
	v_add_f32_e32 v8, v8, v9
	ds_bpermute_b32 v9, v6, v8
	s_and_saveexec_b64 s[2:3], vcc
	s_cbranch_execz .LBB30_6
; %bb.5:
	s_waitcnt lgkmcnt(0)
	v_add_f32_e32 v8, v8, v9
	ds_write_b32 v5, v8 offset:16
.LBB30_6:
	s_or_b64 exec, exec, s[2:3]
	ds_bpermute_b32 v8, v1, v43
	s_waitcnt lgkmcnt(0)
	v_add_f32_e32 v8, v43, v8
	ds_bpermute_b32 v9, v2, v8
	s_waitcnt lgkmcnt(0)
	v_add_f32_e32 v8, v8, v9
	ds_bpermute_b32 v9, v3, v8
	s_waitcnt lgkmcnt(0)
	v_add_f32_e32 v8, v8, v9
	ds_bpermute_b32 v9, v4, v8
	s_waitcnt lgkmcnt(0)
	v_add_f32_e32 v8, v8, v9
	ds_bpermute_b32 v9, v6, v8
	s_and_saveexec_b64 s[2:3], vcc
	s_cbranch_execz .LBB30_8
; %bb.7:
	s_waitcnt lgkmcnt(0)
	v_add_f32_e32 v8, v8, v9
	ds_write_b32 v5, v8 offset:32
.LBB30_8:
	;; [unrolled: 21-line block ×30, first 2 shown]
	s_or_b64 exec, exec, s[2:3]
	v_cmp_eq_u32_e32 vcc, 0, v0
	s_waitcnt lgkmcnt(0)
	s_barrier
	s_and_saveexec_b64 s[2:3], vcc
	s_cbranch_execz .LBB30_66
; %bb.65:
	v_mov_b32_e32 v16, 0
	ds_read_b128 v[0:3], v16
	s_ashr_i32 s7, s6, 31
	ds_read_b128 v[4:7], v16 offset:16
	ds_read_b128 v[8:11], v16 offset:32
	;; [unrolled: 1-line block ×3, first 2 shown]
	s_lshl_b64 s[2:3], s[6:7], 2
	s_add_u32 s0, s0, s2
	s_waitcnt lgkmcnt(3)
	v_add_f32_e32 v0, 0, v0
	v_add_f32_e32 v0, v0, v1
	;; [unrolled: 1-line block ×4, first 2 shown]
	s_addc_u32 s1, s1, s3
	global_store_dword v16, v0, s[0:1]
	s_waitcnt lgkmcnt(2)
	v_add_f32_e32 v0, 0, v4
	v_add_f32_e32 v0, v0, v5
	v_add_f32_e32 v0, v0, v6
	v_add_f32_e32 v0, v0, v7
	global_store_dword v16, v0, s[0:1] offset:1024
	s_waitcnt lgkmcnt(1)
	v_add_f32_e32 v0, 0, v8
	v_add_f32_e32 v0, v0, v9
	;; [unrolled: 1-line block ×4, first 2 shown]
	global_store_dword v16, v0, s[0:1] offset:2048
	s_waitcnt lgkmcnt(0)
	v_add_f32_e32 v0, 0, v12
	v_add_f32_e32 v4, v0, v13
	ds_read_b128 v[0:3], v16 offset:64
	v_add_f32_e32 v4, v4, v14
	v_add_f32_e32 v4, v4, v15
	global_store_dword v16, v4, s[0:1] offset:3072
	ds_read_b128 v[4:7], v16 offset:80
	s_waitcnt lgkmcnt(1)
	v_add_f32_e32 v0, 0, v0
	v_add_f32_e32 v0, v0, v1
	;; [unrolled: 1-line block ×4, first 2 shown]
	v_mov_b32_e32 v8, 0x1000
	global_store_dword v8, v0, s[0:1]
	s_waitcnt lgkmcnt(0)
	v_add_f32_e32 v0, 0, v4
	v_add_f32_e32 v4, v0, v5
	ds_read_b128 v[0:3], v16 offset:96
	v_add_f32_e32 v4, v4, v6
	v_add_f32_e32 v4, v4, v7
	global_store_dword v8, v4, s[0:1] offset:1024
	ds_read_b128 v[4:7], v16 offset:112
	s_waitcnt lgkmcnt(1)
	v_add_f32_e32 v0, 0, v0
	v_add_f32_e32 v0, v0, v1
	;; [unrolled: 1-line block ×4, first 2 shown]
	global_store_dword v8, v0, s[0:1] offset:2048
	s_waitcnt lgkmcnt(0)
	v_add_f32_e32 v0, 0, v4
	v_add_f32_e32 v4, v0, v5
	ds_read_b128 v[0:3], v16 offset:128
	v_add_f32_e32 v4, v4, v6
	v_add_f32_e32 v4, v4, v7
	global_store_dword v8, v4, s[0:1] offset:3072
	ds_read_b128 v[4:7], v16 offset:144
	s_waitcnt lgkmcnt(1)
	v_add_f32_e32 v0, 0, v0
	v_add_f32_e32 v0, v0, v1
	;; [unrolled: 1-line block ×4, first 2 shown]
	v_mov_b32_e32 v12, 0x2000
	global_store_dword v12, v0, s[0:1]
	ds_read_b128 v[0:3], v16 offset:160
	ds_read_b128 v[8:11], v16 offset:176
	s_waitcnt lgkmcnt(2)
	v_add_f32_e32 v4, 0, v4
	v_add_f32_e32 v4, v4, v5
	;; [unrolled: 1-line block ×3, first 2 shown]
	s_waitcnt lgkmcnt(1)
	v_add_f32_e32 v0, 0, v0
	v_add_f32_e32 v0, v0, v1
	;; [unrolled: 1-line block ×5, first 2 shown]
	global_store_dword v12, v0, s[0:1] offset:2048
	s_waitcnt lgkmcnt(0)
	v_add_f32_e32 v0, 0, v8
	global_store_dword v12, v4, s[0:1] offset:1024
	v_add_f32_e32 v4, v0, v9
	ds_read_b128 v[0:3], v16 offset:192
	v_add_f32_e32 v4, v4, v10
	v_add_f32_e32 v4, v4, v11
	global_store_dword v12, v4, s[0:1] offset:3072
	ds_read_b128 v[4:7], v16 offset:208
	s_waitcnt lgkmcnt(1)
	v_add_f32_e32 v0, 0, v0
	v_add_f32_e32 v0, v0, v1
	;; [unrolled: 1-line block ×4, first 2 shown]
	v_mov_b32_e32 v8, 0x3000
	global_store_dword v8, v0, s[0:1]
	s_waitcnt lgkmcnt(0)
	v_add_f32_e32 v0, 0, v4
	v_add_f32_e32 v4, v0, v5
	ds_read_b128 v[0:3], v16 offset:224
	v_add_f32_e32 v4, v4, v6
	v_add_f32_e32 v4, v4, v7
	global_store_dword v8, v4, s[0:1] offset:1024
	ds_read_b128 v[4:7], v16 offset:240
	s_waitcnt lgkmcnt(1)
	v_add_f32_e32 v0, 0, v0
	v_add_f32_e32 v0, v0, v1
	;; [unrolled: 1-line block ×4, first 2 shown]
	global_store_dword v8, v0, s[0:1] offset:2048
	s_waitcnt lgkmcnt(0)
	v_add_f32_e32 v0, 0, v4
	v_add_f32_e32 v4, v0, v5
	ds_read_b128 v[0:3], v16 offset:256
	v_add_f32_e32 v4, v4, v6
	v_add_f32_e32 v4, v4, v7
	global_store_dword v8, v4, s[0:1] offset:3072
	ds_read_b128 v[4:7], v16 offset:272
	s_waitcnt lgkmcnt(1)
	v_add_f32_e32 v0, 0, v0
	v_add_f32_e32 v0, v0, v1
	;; [unrolled: 1-line block ×4, first 2 shown]
	v_mov_b32_e32 v12, 0x4000
	global_store_dword v12, v0, s[0:1]
	ds_read_b128 v[0:3], v16 offset:288
	ds_read_b128 v[8:11], v16 offset:304
	s_waitcnt lgkmcnt(2)
	v_add_f32_e32 v4, 0, v4
	v_add_f32_e32 v4, v4, v5
	;; [unrolled: 1-line block ×3, first 2 shown]
	s_waitcnt lgkmcnt(1)
	v_add_f32_e32 v0, 0, v0
	v_add_f32_e32 v0, v0, v1
	;; [unrolled: 1-line block ×5, first 2 shown]
	global_store_dword v12, v0, s[0:1] offset:2048
	s_waitcnt lgkmcnt(0)
	v_add_f32_e32 v0, 0, v8
	global_store_dword v12, v4, s[0:1] offset:1024
	v_add_f32_e32 v4, v0, v9
	ds_read_b128 v[0:3], v16 offset:320
	v_add_f32_e32 v4, v4, v10
	v_add_f32_e32 v4, v4, v11
	global_store_dword v12, v4, s[0:1] offset:3072
	ds_read_b128 v[4:7], v16 offset:336
	s_waitcnt lgkmcnt(1)
	v_add_f32_e32 v0, 0, v0
	v_add_f32_e32 v0, v0, v1
	;; [unrolled: 1-line block ×4, first 2 shown]
	v_mov_b32_e32 v8, 0x5000
	global_store_dword v8, v0, s[0:1]
	s_waitcnt lgkmcnt(0)
	v_add_f32_e32 v0, 0, v4
	v_add_f32_e32 v4, v0, v5
	ds_read_b128 v[0:3], v16 offset:352
	v_add_f32_e32 v4, v4, v6
	v_add_f32_e32 v4, v4, v7
	global_store_dword v8, v4, s[0:1] offset:1024
	ds_read_b128 v[4:7], v16 offset:368
	s_waitcnt lgkmcnt(1)
	v_add_f32_e32 v0, 0, v0
	v_add_f32_e32 v0, v0, v1
	;; [unrolled: 1-line block ×4, first 2 shown]
	global_store_dword v8, v0, s[0:1] offset:2048
	s_waitcnt lgkmcnt(0)
	v_add_f32_e32 v0, 0, v4
	v_add_f32_e32 v4, v0, v5
	ds_read_b128 v[0:3], v16 offset:384
	v_add_f32_e32 v4, v4, v6
	v_add_f32_e32 v4, v4, v7
	global_store_dword v8, v4, s[0:1] offset:3072
	ds_read_b128 v[4:7], v16 offset:400
	s_waitcnt lgkmcnt(1)
	v_add_f32_e32 v0, 0, v0
	v_add_f32_e32 v0, v0, v1
	;; [unrolled: 1-line block ×4, first 2 shown]
	v_mov_b32_e32 v17, 0x6000
	global_store_dword v17, v0, s[0:1]
	s_waitcnt lgkmcnt(0)
	v_add_f32_e32 v0, 0, v4
	v_add_f32_e32 v0, v0, v5
	v_add_f32_e32 v0, v0, v6
	v_add_f32_e32 v4, v0, v7
	ds_read_b128 v[0:3], v16 offset:416
	global_store_dword v17, v4, s[0:1] offset:1024
	ds_read_b128 v[4:7], v16 offset:432
	ds_read_b128 v[8:11], v16 offset:448
	;; [unrolled: 1-line block ×3, first 2 shown]
	s_waitcnt lgkmcnt(3)
	v_add_f32_e32 v0, 0, v0
	v_add_f32_e32 v0, v0, v1
	;; [unrolled: 1-line block ×4, first 2 shown]
	global_store_dword v17, v0, s[0:1] offset:2048
	s_waitcnt lgkmcnt(2)
	v_add_f32_e32 v0, 0, v4
	v_add_f32_e32 v0, v0, v5
	;; [unrolled: 1-line block ×4, first 2 shown]
	global_store_dword v17, v0, s[0:1] offset:3072
	s_waitcnt lgkmcnt(1)
	v_add_f32_e32 v0, 0, v8
	v_add_f32_e32 v0, v0, v9
	;; [unrolled: 1-line block ×4, first 2 shown]
	v_mov_b32_e32 v4, 0x7000
	global_store_dword v4, v0, s[0:1]
	ds_read_b128 v[0:3], v16 offset:480
	s_waitcnt lgkmcnt(1)
	v_add_f32_e32 v5, 0, v12
	v_add_f32_e32 v5, v5, v13
	v_add_f32_e32 v5, v5, v14
	v_add_f32_e32 v5, v5, v15
	s_waitcnt lgkmcnt(0)
	v_add_f32_e32 v0, 0, v0
	v_add_f32_e32 v0, v0, v1
	;; [unrolled: 1-line block ×4, first 2 shown]
	global_store_dword v4, v5, s[0:1] offset:1024
	global_store_dword v4, v0, s[0:1] offset:2048
.LBB30_66:
	s_endpgm
	.section	.rodata,"a",@progbits
	.p2align	6, 0x0
	.amdhsa_kernel _Z23fp32_router_gemm_kernelIfLi128ELi31ELi256ELi3072EEvPfPKT_PKf
		.amdhsa_group_segment_fixed_size 496
		.amdhsa_private_segment_fixed_size 0
		.amdhsa_kernarg_size 24
		.amdhsa_user_sgpr_count 6
		.amdhsa_user_sgpr_private_segment_buffer 1
		.amdhsa_user_sgpr_dispatch_ptr 0
		.amdhsa_user_sgpr_queue_ptr 0
		.amdhsa_user_sgpr_kernarg_segment_ptr 1
		.amdhsa_user_sgpr_dispatch_id 0
		.amdhsa_user_sgpr_flat_scratch_init 0
		.amdhsa_user_sgpr_kernarg_preload_length 0
		.amdhsa_user_sgpr_kernarg_preload_offset 0
		.amdhsa_user_sgpr_private_segment_size 0
		.amdhsa_uses_dynamic_stack 0
		.amdhsa_system_sgpr_private_segment_wavefront_offset 0
		.amdhsa_system_sgpr_workgroup_id_x 1
		.amdhsa_system_sgpr_workgroup_id_y 0
		.amdhsa_system_sgpr_workgroup_id_z 0
		.amdhsa_system_sgpr_workgroup_info 0
		.amdhsa_system_vgpr_workitem_id 0
		.amdhsa_next_free_vgpr 62
		.amdhsa_next_free_sgpr 40
		.amdhsa_accum_offset 64
		.amdhsa_reserve_vcc 1
		.amdhsa_reserve_flat_scratch 0
		.amdhsa_float_round_mode_32 0
		.amdhsa_float_round_mode_16_64 0
		.amdhsa_float_denorm_mode_32 3
		.amdhsa_float_denorm_mode_16_64 3
		.amdhsa_dx10_clamp 1
		.amdhsa_ieee_mode 1
		.amdhsa_fp16_overflow 0
		.amdhsa_tg_split 0
		.amdhsa_exception_fp_ieee_invalid_op 0
		.amdhsa_exception_fp_denorm_src 0
		.amdhsa_exception_fp_ieee_div_zero 0
		.amdhsa_exception_fp_ieee_overflow 0
		.amdhsa_exception_fp_ieee_underflow 0
		.amdhsa_exception_fp_ieee_inexact 0
		.amdhsa_exception_int_div_zero 0
	.end_amdhsa_kernel
	.section	.text._Z23fp32_router_gemm_kernelIfLi128ELi31ELi256ELi3072EEvPfPKT_PKf,"axG",@progbits,_Z23fp32_router_gemm_kernelIfLi128ELi31ELi256ELi3072EEvPfPKT_PKf,comdat
.Lfunc_end30:
	.size	_Z23fp32_router_gemm_kernelIfLi128ELi31ELi256ELi3072EEvPfPKT_PKf, .Lfunc_end30-_Z23fp32_router_gemm_kernelIfLi128ELi31ELi256ELi3072EEvPfPKT_PKf
                                        ; -- End function
	.section	.AMDGPU.csdata,"",@progbits
; Kernel info:
; codeLenInByte = 6100
; NumSgprs: 44
; NumVgprs: 62
; NumAgprs: 0
; TotalNumVgprs: 62
; ScratchSize: 0
; MemoryBound: 0
; FloatMode: 240
; IeeeMode: 1
; LDSByteSize: 496 bytes/workgroup (compile time only)
; SGPRBlocks: 5
; VGPRBlocks: 7
; NumSGPRsForWavesPerEU: 44
; NumVGPRsForWavesPerEU: 62
; AccumOffset: 64
; Occupancy: 8
; WaveLimiterHint : 1
; COMPUTE_PGM_RSRC2:SCRATCH_EN: 0
; COMPUTE_PGM_RSRC2:USER_SGPR: 6
; COMPUTE_PGM_RSRC2:TRAP_HANDLER: 0
; COMPUTE_PGM_RSRC2:TGID_X_EN: 1
; COMPUTE_PGM_RSRC2:TGID_Y_EN: 0
; COMPUTE_PGM_RSRC2:TGID_Z_EN: 0
; COMPUTE_PGM_RSRC2:TIDIG_COMP_CNT: 0
; COMPUTE_PGM_RSRC3_GFX90A:ACCUM_OFFSET: 15
; COMPUTE_PGM_RSRC3_GFX90A:TG_SPLIT: 0
	.section	.text._Z23fp32_router_gemm_kernelIfLi128ELi32ELi256ELi3072EEvPfPKT_PKf,"axG",@progbits,_Z23fp32_router_gemm_kernelIfLi128ELi32ELi256ELi3072EEvPfPKT_PKf,comdat
	.protected	_Z23fp32_router_gemm_kernelIfLi128ELi32ELi256ELi3072EEvPfPKT_PKf ; -- Begin function _Z23fp32_router_gemm_kernelIfLi128ELi32ELi256ELi3072EEvPfPKT_PKf
	.globl	_Z23fp32_router_gemm_kernelIfLi128ELi32ELi256ELi3072EEvPfPKT_PKf
	.p2align	8
	.type	_Z23fp32_router_gemm_kernelIfLi128ELi32ELi256ELi3072EEvPfPKT_PKf,@function
_Z23fp32_router_gemm_kernelIfLi128ELi32ELi256ELi3072EEvPfPKT_PKf: ; @_Z23fp32_router_gemm_kernelIfLi128ELi32ELi256ELi3072EEvPfPKT_PKf
; %bb.0:
	s_load_dwordx4 s[0:3], s[4:5], 0x0
	s_load_dwordx2 s[8:9], s[4:5], 0x10
	s_mul_i32 s4, s6, 0xc00
	s_ashr_i32 s5, s4, 31
	s_lshl_b64 s[4:5], s[4:5], 2
	v_lshlrev_b32_e32 v2, 2, v0
	s_waitcnt lgkmcnt(0)
	s_add_u32 s4, s8, s4
	v_or_b32_e32 v1, 0x200, v2
	v_or_b32_e32 v4, 0x400, v2
	;; [unrolled: 1-line block ×3, first 2 shown]
	s_addc_u32 s5, s9, s5
	s_mov_b64 s[8:9], 0
	v_mov_b32_e32 v46, 0
	v_mov_b32_e32 v47, s3
	s_movk_i32 s7, 0x3000
	s_movk_i32 s10, 0x6000
	s_mov_b32 s11, 0x9000
	s_mov_b32 s12, 0xc000
	s_mov_b32 s13, 0xf000
	s_mov_b32 s14, 0x12000
	s_mov_b32 s15, 0x15000
	s_mov_b32 s16, 0x18000
	s_mov_b32 s17, 0x1b000
	s_mov_b32 s18, 0x1e000
	s_mov_b32 s19, 0x21000
	s_mov_b32 s20, 0x24000
	s_mov_b32 s21, 0x27000
	s_mov_b32 s22, 0x2a000
	s_mov_b32 s23, 0x2d000
	s_mov_b32 s24, 0x30000
	s_mov_b32 s25, 0x33000
	s_mov_b32 s26, 0x36000
	s_mov_b32 s27, 0x39000
	s_mov_b32 s28, 0x3c000
	s_mov_b32 s29, 0x3f000
	s_mov_b32 s30, 0x42000
	s_mov_b32 s31, 0x45000
	s_mov_b32 s33, 0x48000
	s_mov_b32 s34, 0x4b000
	s_mov_b32 s35, 0x4e000
	s_mov_b32 s36, 0x51000
	s_mov_b32 s37, 0x54000
	s_mov_b32 s38, 0x57000
	s_mov_b32 s39, 0x5a000
	s_mov_b32 s40, 0x5d000
	v_mov_b32_e32 v45, 0
	v_mov_b32_e32 v44, 0
	;; [unrolled: 1-line block ×31, first 2 shown]
	v_or_b32_e32 v6, 0x800, v2
	v_or_b32_e32 v5, 0xa00, v2
.LBB31_1:                               ; =>This Inner Loop Header: Depth=1
	s_cmp_eq_u32 s8, 1
	s_cselect_b64 vcc, -1, 0
	s_cmp_eq_u32 s8, 2
	v_cndmask_b32_e32 v8, v2, v1, vcc
	s_cselect_b64 vcc, -1, 0
	s_cmp_eq_u32 s8, 3
	v_cndmask_b32_e32 v8, v8, v4, vcc
	;; [unrolled: 3-line block ×4, first 2 shown]
	s_cselect_b64 vcc, -1, 0
	v_cndmask_b32_e32 v8, v8, v5, vcc
	v_lshlrev_b32_e32 v62, 2, v8
	v_add_co_u32_e32 v49, vcc, s2, v62
	v_addc_co_u32_e32 v48, vcc, 0, v47, vcc
	v_add_co_u32_e32 v58, vcc, s7, v49
	v_addc_co_u32_e32 v59, vcc, 0, v48, vcc
	;; [unrolled: 2-line block ×3, first 2 shown]
	global_load_dwordx4 v[50:53], v[58:59], off
	global_load_dwordx4 v[54:57], v[60:61], off
	global_load_dwordx4 v[8:11], v62, s[4:5]
	global_load_dwordx4 v[12:15], v62, s[2:3]
	v_add_co_u32_e32 v58, vcc, s11, v49
	v_addc_co_u32_e32 v59, vcc, 0, v48, vcc
	v_add_co_u32_e32 v60, vcc, s12, v49
	v_addc_co_u32_e32 v61, vcc, 0, v48, vcc
	s_add_u32 s8, s8, 1
	s_addc_u32 s9, s9, 0
	s_cmp_eq_u32 s8, 6
	s_waitcnt vmcnt(1)
	v_fmac_f32_e32 v45, v50, v8
	v_fmac_f32_e32 v44, v54, v8
	;; [unrolled: 1-line block ×8, first 2 shown]
	global_load_dwordx4 v[50:53], v[58:59], off
	global_load_dwordx4 v[54:57], v[60:61], off
	v_add_co_u32_e32 v58, vcc, s13, v49
	v_addc_co_u32_e32 v59, vcc, 0, v48, vcc
	v_add_co_u32_e32 v60, vcc, s14, v49
	v_addc_co_u32_e32 v61, vcc, 0, v48, vcc
	s_waitcnt vmcnt(1)
	v_fmac_f32_e32 v43, v50, v8
	s_waitcnt vmcnt(0)
	v_fmac_f32_e32 v42, v54, v8
	v_fmac_f32_e32 v43, v51, v9
	v_fmac_f32_e32 v42, v55, v9
	v_fmac_f32_e32 v43, v52, v10
	v_fmac_f32_e32 v42, v56, v10
	v_fmac_f32_e32 v43, v53, v11
	v_fmac_f32_e32 v42, v57, v11
	global_load_dwordx4 v[50:53], v[58:59], off
	global_load_dwordx4 v[54:57], v[60:61], off
	v_add_co_u32_e32 v58, vcc, s15, v49
	v_addc_co_u32_e32 v59, vcc, 0, v48, vcc
	v_add_co_u32_e32 v60, vcc, s16, v49
	v_addc_co_u32_e32 v61, vcc, 0, v48, vcc
	s_waitcnt vmcnt(1)
	v_fmac_f32_e32 v41, v50, v8
	s_waitcnt vmcnt(0)
	v_fmac_f32_e32 v40, v54, v8
	v_fmac_f32_e32 v41, v51, v9
	v_fmac_f32_e32 v40, v55, v9
	v_fmac_f32_e32 v41, v52, v10
	v_fmac_f32_e32 v40, v56, v10
	v_fmac_f32_e32 v41, v53, v11
	v_fmac_f32_e32 v40, v57, v11
	;; [unrolled: 16-line block ×13, first 2 shown]
	global_load_dwordx4 v[50:53], v[58:59], off
	global_load_dwordx4 v[54:57], v[60:61], off
	s_waitcnt vmcnt(1)
	v_fmac_f32_e32 v17, v50, v8
	v_add_co_u32_e32 v50, vcc, s40, v49
	v_fmac_f32_e32 v17, v51, v9
	v_addc_co_u32_e32 v51, vcc, 0, v48, vcc
	global_load_dwordx4 v[48:51], v[50:51], off
	s_waitcnt vmcnt(1)
	v_fmac_f32_e32 v16, v54, v8
	v_fmac_f32_e32 v16, v55, v9
	;; [unrolled: 1-line block ×6, first 2 shown]
	s_waitcnt vmcnt(0)
	v_fmac_f32_e32 v7, v48, v8
	v_fmac_f32_e32 v7, v49, v9
	v_pk_mul_f32 v[8:9], v[12:13], v[8:9]
	v_fmac_f32_e32 v7, v50, v10
	v_add_f32_e32 v8, v8, v46
	v_fmac_f32_e32 v7, v51, v11
	v_pk_mul_f32 v[10:11], v[14:15], v[10:11]
	v_add_f32_e32 v8, v9, v8
	v_add_f32_e32 v8, v10, v8
	v_add_f32_e32 v46, v11, v8
	s_cbranch_scc0 .LBB31_1
; %bb.2:
	v_mbcnt_lo_u32_b32 v1, -1, 0
	v_mbcnt_hi_u32_b32 v5, -1, v1
	v_and_b32_e32 v2, 64, v5
	v_xor_b32_e32 v1, 16, v5
	v_add_u32_e32 v6, 64, v2
	v_cmp_lt_i32_e32 vcc, v1, v6
	v_cndmask_b32_e32 v1, v5, v1, vcc
	v_lshlrev_b32_e32 v1, 2, v1
	ds_bpermute_b32 v3, v1, v46
	v_xor_b32_e32 v2, 8, v5
	v_cmp_lt_i32_e32 vcc, v2, v6
	v_cndmask_b32_e32 v2, v5, v2, vcc
	v_lshlrev_b32_e32 v2, 2, v2
	s_waitcnt lgkmcnt(0)
	v_add_f32_e32 v4, v46, v3
	ds_bpermute_b32 v8, v2, v4
	v_xor_b32_e32 v3, 4, v5
	v_cmp_lt_i32_e32 vcc, v3, v6
	v_cndmask_b32_e32 v3, v5, v3, vcc
	v_lshlrev_b32_e32 v3, 2, v3
	s_waitcnt lgkmcnt(0)
	v_add_f32_e32 v8, v4, v8
	;; [unrolled: 7-line block ×4, first 2 shown]
	ds_bpermute_b32 v9, v6, v8
	v_lshrrev_b32_e32 v5, 5, v0
	v_and_b32_e32 v10, 31, v0
	v_cmp_eq_u32_e32 vcc, 0, v10
	v_lshlrev_b32_e32 v5, 2, v5
	s_and_saveexec_b64 s[2:3], vcc
	s_cbranch_execz .LBB31_4
; %bb.3:
	s_waitcnt lgkmcnt(0)
	v_add_f32_e32 v8, v8, v9
	ds_write_b32 v5, v8
.LBB31_4:
	s_or_b64 exec, exec, s[2:3]
	ds_bpermute_b32 v8, v1, v45
	s_waitcnt lgkmcnt(0)
	v_add_f32_e32 v8, v45, v8
	ds_bpermute_b32 v9, v2, v8
	s_waitcnt lgkmcnt(0)
	v_add_f32_e32 v8, v8, v9
	ds_bpermute_b32 v9, v3, v8
	s_waitcnt lgkmcnt(0)
	v_add_f32_e32 v8, v8, v9
	ds_bpermute_b32 v9, v4, v8
	s_waitcnt lgkmcnt(0)
	v_add_f32_e32 v8, v8, v9
	ds_bpermute_b32 v9, v6, v8
	s_and_saveexec_b64 s[2:3], vcc
	s_cbranch_execz .LBB31_6
; %bb.5:
	s_waitcnt lgkmcnt(0)
	v_add_f32_e32 v8, v8, v9
	ds_write_b32 v5, v8 offset:16
.LBB31_6:
	s_or_b64 exec, exec, s[2:3]
	ds_bpermute_b32 v8, v1, v44
	s_waitcnt lgkmcnt(0)
	v_add_f32_e32 v8, v44, v8
	ds_bpermute_b32 v9, v2, v8
	s_waitcnt lgkmcnt(0)
	v_add_f32_e32 v8, v8, v9
	ds_bpermute_b32 v9, v3, v8
	s_waitcnt lgkmcnt(0)
	v_add_f32_e32 v8, v8, v9
	ds_bpermute_b32 v9, v4, v8
	s_waitcnt lgkmcnt(0)
	v_add_f32_e32 v8, v8, v9
	ds_bpermute_b32 v9, v6, v8
	s_and_saveexec_b64 s[2:3], vcc
	s_cbranch_execz .LBB31_8
; %bb.7:
	s_waitcnt lgkmcnt(0)
	v_add_f32_e32 v8, v8, v9
	ds_write_b32 v5, v8 offset:32
.LBB31_8:
	;; [unrolled: 21-line block ×31, first 2 shown]
	s_or_b64 exec, exec, s[2:3]
	v_cmp_eq_u32_e32 vcc, 0, v0
	s_waitcnt lgkmcnt(0)
	s_barrier
	s_and_saveexec_b64 s[2:3], vcc
	s_cbranch_execz .LBB31_68
; %bb.67:
	v_mov_b32_e32 v16, 0
	ds_read_b128 v[0:3], v16
	s_ashr_i32 s7, s6, 31
	ds_read_b128 v[4:7], v16 offset:16
	ds_read_b128 v[8:11], v16 offset:32
	;; [unrolled: 1-line block ×3, first 2 shown]
	s_lshl_b64 s[2:3], s[6:7], 2
	s_add_u32 s0, s0, s2
	s_waitcnt lgkmcnt(3)
	v_add_f32_e32 v0, 0, v0
	v_add_f32_e32 v0, v0, v1
	;; [unrolled: 1-line block ×4, first 2 shown]
	s_addc_u32 s1, s1, s3
	global_store_dword v16, v0, s[0:1]
	s_waitcnt lgkmcnt(2)
	v_add_f32_e32 v0, 0, v4
	v_add_f32_e32 v0, v0, v5
	;; [unrolled: 1-line block ×4, first 2 shown]
	global_store_dword v16, v0, s[0:1] offset:1024
	s_waitcnt lgkmcnt(1)
	v_add_f32_e32 v0, 0, v8
	v_add_f32_e32 v0, v0, v9
	v_add_f32_e32 v0, v0, v10
	v_add_f32_e32 v0, v0, v11
	global_store_dword v16, v0, s[0:1] offset:2048
	s_waitcnt lgkmcnt(0)
	v_add_f32_e32 v0, 0, v12
	v_add_f32_e32 v4, v0, v13
	ds_read_b128 v[0:3], v16 offset:64
	v_add_f32_e32 v4, v4, v14
	v_add_f32_e32 v4, v4, v15
	global_store_dword v16, v4, s[0:1] offset:3072
	ds_read_b128 v[4:7], v16 offset:80
	s_waitcnt lgkmcnt(1)
	v_add_f32_e32 v0, 0, v0
	v_add_f32_e32 v0, v0, v1
	;; [unrolled: 1-line block ×4, first 2 shown]
	v_mov_b32_e32 v8, 0x1000
	global_store_dword v8, v0, s[0:1]
	s_waitcnt lgkmcnt(0)
	v_add_f32_e32 v0, 0, v4
	v_add_f32_e32 v4, v0, v5
	ds_read_b128 v[0:3], v16 offset:96
	v_add_f32_e32 v4, v4, v6
	v_add_f32_e32 v4, v4, v7
	global_store_dword v8, v4, s[0:1] offset:1024
	ds_read_b128 v[4:7], v16 offset:112
	s_waitcnt lgkmcnt(1)
	v_add_f32_e32 v0, 0, v0
	v_add_f32_e32 v0, v0, v1
	;; [unrolled: 1-line block ×4, first 2 shown]
	global_store_dword v8, v0, s[0:1] offset:2048
	s_waitcnt lgkmcnt(0)
	v_add_f32_e32 v0, 0, v4
	v_add_f32_e32 v4, v0, v5
	ds_read_b128 v[0:3], v16 offset:128
	v_add_f32_e32 v4, v4, v6
	v_add_f32_e32 v4, v4, v7
	global_store_dword v8, v4, s[0:1] offset:3072
	ds_read_b128 v[4:7], v16 offset:144
	s_waitcnt lgkmcnt(1)
	v_add_f32_e32 v0, 0, v0
	v_add_f32_e32 v0, v0, v1
	;; [unrolled: 1-line block ×4, first 2 shown]
	v_mov_b32_e32 v12, 0x2000
	global_store_dword v12, v0, s[0:1]
	ds_read_b128 v[0:3], v16 offset:160
	ds_read_b128 v[8:11], v16 offset:176
	s_waitcnt lgkmcnt(2)
	v_add_f32_e32 v4, 0, v4
	v_add_f32_e32 v4, v4, v5
	;; [unrolled: 1-line block ×3, first 2 shown]
	s_waitcnt lgkmcnt(1)
	v_add_f32_e32 v0, 0, v0
	v_add_f32_e32 v0, v0, v1
	;; [unrolled: 1-line block ×5, first 2 shown]
	global_store_dword v12, v0, s[0:1] offset:2048
	s_waitcnt lgkmcnt(0)
	v_add_f32_e32 v0, 0, v8
	global_store_dword v12, v4, s[0:1] offset:1024
	v_add_f32_e32 v4, v0, v9
	ds_read_b128 v[0:3], v16 offset:192
	v_add_f32_e32 v4, v4, v10
	v_add_f32_e32 v4, v4, v11
	global_store_dword v12, v4, s[0:1] offset:3072
	ds_read_b128 v[4:7], v16 offset:208
	s_waitcnt lgkmcnt(1)
	v_add_f32_e32 v0, 0, v0
	v_add_f32_e32 v0, v0, v1
	;; [unrolled: 1-line block ×4, first 2 shown]
	v_mov_b32_e32 v8, 0x3000
	global_store_dword v8, v0, s[0:1]
	s_waitcnt lgkmcnt(0)
	v_add_f32_e32 v0, 0, v4
	v_add_f32_e32 v4, v0, v5
	ds_read_b128 v[0:3], v16 offset:224
	v_add_f32_e32 v4, v4, v6
	v_add_f32_e32 v4, v4, v7
	global_store_dword v8, v4, s[0:1] offset:1024
	ds_read_b128 v[4:7], v16 offset:240
	s_waitcnt lgkmcnt(1)
	v_add_f32_e32 v0, 0, v0
	v_add_f32_e32 v0, v0, v1
	;; [unrolled: 1-line block ×4, first 2 shown]
	global_store_dword v8, v0, s[0:1] offset:2048
	s_waitcnt lgkmcnt(0)
	v_add_f32_e32 v0, 0, v4
	v_add_f32_e32 v4, v0, v5
	ds_read_b128 v[0:3], v16 offset:256
	v_add_f32_e32 v4, v4, v6
	v_add_f32_e32 v4, v4, v7
	global_store_dword v8, v4, s[0:1] offset:3072
	ds_read_b128 v[4:7], v16 offset:272
	s_waitcnt lgkmcnt(1)
	v_add_f32_e32 v0, 0, v0
	v_add_f32_e32 v0, v0, v1
	;; [unrolled: 1-line block ×4, first 2 shown]
	v_mov_b32_e32 v12, 0x4000
	global_store_dword v12, v0, s[0:1]
	ds_read_b128 v[0:3], v16 offset:288
	ds_read_b128 v[8:11], v16 offset:304
	s_waitcnt lgkmcnt(2)
	v_add_f32_e32 v4, 0, v4
	v_add_f32_e32 v4, v4, v5
	;; [unrolled: 1-line block ×3, first 2 shown]
	s_waitcnt lgkmcnt(1)
	v_add_f32_e32 v0, 0, v0
	v_add_f32_e32 v0, v0, v1
	;; [unrolled: 1-line block ×5, first 2 shown]
	global_store_dword v12, v0, s[0:1] offset:2048
	s_waitcnt lgkmcnt(0)
	v_add_f32_e32 v0, 0, v8
	global_store_dword v12, v4, s[0:1] offset:1024
	v_add_f32_e32 v4, v0, v9
	ds_read_b128 v[0:3], v16 offset:320
	v_add_f32_e32 v4, v4, v10
	v_add_f32_e32 v4, v4, v11
	global_store_dword v12, v4, s[0:1] offset:3072
	ds_read_b128 v[4:7], v16 offset:336
	s_waitcnt lgkmcnt(1)
	v_add_f32_e32 v0, 0, v0
	v_add_f32_e32 v0, v0, v1
	;; [unrolled: 1-line block ×4, first 2 shown]
	v_mov_b32_e32 v8, 0x5000
	global_store_dword v8, v0, s[0:1]
	s_waitcnt lgkmcnt(0)
	v_add_f32_e32 v0, 0, v4
	v_add_f32_e32 v4, v0, v5
	ds_read_b128 v[0:3], v16 offset:352
	v_add_f32_e32 v4, v4, v6
	v_add_f32_e32 v4, v4, v7
	global_store_dword v8, v4, s[0:1] offset:1024
	ds_read_b128 v[4:7], v16 offset:368
	s_waitcnt lgkmcnt(1)
	v_add_f32_e32 v0, 0, v0
	v_add_f32_e32 v0, v0, v1
	;; [unrolled: 1-line block ×4, first 2 shown]
	global_store_dword v8, v0, s[0:1] offset:2048
	s_waitcnt lgkmcnt(0)
	v_add_f32_e32 v0, 0, v4
	v_add_f32_e32 v4, v0, v5
	ds_read_b128 v[0:3], v16 offset:384
	v_add_f32_e32 v4, v4, v6
	v_add_f32_e32 v4, v4, v7
	global_store_dword v8, v4, s[0:1] offset:3072
	ds_read_b128 v[4:7], v16 offset:400
	s_waitcnt lgkmcnt(1)
	v_add_f32_e32 v0, 0, v0
	v_add_f32_e32 v0, v0, v1
	;; [unrolled: 1-line block ×4, first 2 shown]
	v_mov_b32_e32 v17, 0x6000
	global_store_dword v17, v0, s[0:1]
	s_waitcnt lgkmcnt(0)
	v_add_f32_e32 v0, 0, v4
	v_add_f32_e32 v0, v0, v5
	;; [unrolled: 1-line block ×4, first 2 shown]
	ds_read_b128 v[0:3], v16 offset:416
	global_store_dword v17, v4, s[0:1] offset:1024
	ds_read_b128 v[4:7], v16 offset:432
	ds_read_b128 v[8:11], v16 offset:448
	;; [unrolled: 1-line block ×3, first 2 shown]
	s_waitcnt lgkmcnt(3)
	v_add_f32_e32 v0, 0, v0
	v_add_f32_e32 v0, v0, v1
	;; [unrolled: 1-line block ×4, first 2 shown]
	global_store_dword v17, v0, s[0:1] offset:2048
	s_waitcnt lgkmcnt(2)
	v_add_f32_e32 v0, 0, v4
	v_add_f32_e32 v0, v0, v5
	;; [unrolled: 1-line block ×4, first 2 shown]
	global_store_dword v17, v0, s[0:1] offset:3072
	s_waitcnt lgkmcnt(1)
	v_add_f32_e32 v0, 0, v8
	v_add_f32_e32 v0, v0, v9
	;; [unrolled: 1-line block ×4, first 2 shown]
	v_mov_b32_e32 v8, 0x7000
	global_store_dword v8, v0, s[0:1]
	s_waitcnt lgkmcnt(0)
	v_add_f32_e32 v0, 0, v12
	v_add_f32_e32 v4, v0, v13
	ds_read_b128 v[0:3], v16 offset:480
	v_add_f32_e32 v4, v4, v14
	v_add_f32_e32 v4, v4, v15
	global_store_dword v8, v4, s[0:1] offset:1024
	ds_read_b128 v[4:7], v16 offset:496
	s_waitcnt lgkmcnt(1)
	v_add_f32_e32 v0, 0, v0
	v_add_f32_e32 v0, v0, v1
	;; [unrolled: 1-line block ×4, first 2 shown]
	global_store_dword v8, v0, s[0:1] offset:2048
	s_waitcnt lgkmcnt(0)
	v_add_f32_e32 v0, 0, v4
	v_add_f32_e32 v0, v0, v5
	;; [unrolled: 1-line block ×4, first 2 shown]
	global_store_dword v8, v0, s[0:1] offset:3072
.LBB31_68:
	s_endpgm
	.section	.rodata,"a",@progbits
	.p2align	6, 0x0
	.amdhsa_kernel _Z23fp32_router_gemm_kernelIfLi128ELi32ELi256ELi3072EEvPfPKT_PKf
		.amdhsa_group_segment_fixed_size 512
		.amdhsa_private_segment_fixed_size 0
		.amdhsa_kernarg_size 24
		.amdhsa_user_sgpr_count 6
		.amdhsa_user_sgpr_private_segment_buffer 1
		.amdhsa_user_sgpr_dispatch_ptr 0
		.amdhsa_user_sgpr_queue_ptr 0
		.amdhsa_user_sgpr_kernarg_segment_ptr 1
		.amdhsa_user_sgpr_dispatch_id 0
		.amdhsa_user_sgpr_flat_scratch_init 0
		.amdhsa_user_sgpr_kernarg_preload_length 0
		.amdhsa_user_sgpr_kernarg_preload_offset 0
		.amdhsa_user_sgpr_private_segment_size 0
		.amdhsa_uses_dynamic_stack 0
		.amdhsa_system_sgpr_private_segment_wavefront_offset 0
		.amdhsa_system_sgpr_workgroup_id_x 1
		.amdhsa_system_sgpr_workgroup_id_y 0
		.amdhsa_system_sgpr_workgroup_id_z 0
		.amdhsa_system_sgpr_workgroup_info 0
		.amdhsa_system_vgpr_workitem_id 0
		.amdhsa_next_free_vgpr 63
		.amdhsa_next_free_sgpr 41
		.amdhsa_accum_offset 64
		.amdhsa_reserve_vcc 1
		.amdhsa_reserve_flat_scratch 0
		.amdhsa_float_round_mode_32 0
		.amdhsa_float_round_mode_16_64 0
		.amdhsa_float_denorm_mode_32 3
		.amdhsa_float_denorm_mode_16_64 3
		.amdhsa_dx10_clamp 1
		.amdhsa_ieee_mode 1
		.amdhsa_fp16_overflow 0
		.amdhsa_tg_split 0
		.amdhsa_exception_fp_ieee_invalid_op 0
		.amdhsa_exception_fp_denorm_src 0
		.amdhsa_exception_fp_ieee_div_zero 0
		.amdhsa_exception_fp_ieee_overflow 0
		.amdhsa_exception_fp_ieee_underflow 0
		.amdhsa_exception_fp_ieee_inexact 0
		.amdhsa_exception_int_div_zero 0
	.end_amdhsa_kernel
	.section	.text._Z23fp32_router_gemm_kernelIfLi128ELi32ELi256ELi3072EEvPfPKT_PKf,"axG",@progbits,_Z23fp32_router_gemm_kernelIfLi128ELi32ELi256ELi3072EEvPfPKT_PKf,comdat
.Lfunc_end31:
	.size	_Z23fp32_router_gemm_kernelIfLi128ELi32ELi256ELi3072EEvPfPKT_PKf, .Lfunc_end31-_Z23fp32_router_gemm_kernelIfLi128ELi32ELi256ELi3072EEvPfPKT_PKf
                                        ; -- End function
	.section	.AMDGPU.csdata,"",@progbits
; Kernel info:
; codeLenInByte = 6284
; NumSgprs: 45
; NumVgprs: 63
; NumAgprs: 0
; TotalNumVgprs: 63
; ScratchSize: 0
; MemoryBound: 0
; FloatMode: 240
; IeeeMode: 1
; LDSByteSize: 512 bytes/workgroup (compile time only)
; SGPRBlocks: 5
; VGPRBlocks: 7
; NumSGPRsForWavesPerEU: 45
; NumVGPRsForWavesPerEU: 63
; AccumOffset: 64
; Occupancy: 8
; WaveLimiterHint : 1
; COMPUTE_PGM_RSRC2:SCRATCH_EN: 0
; COMPUTE_PGM_RSRC2:USER_SGPR: 6
; COMPUTE_PGM_RSRC2:TRAP_HANDLER: 0
; COMPUTE_PGM_RSRC2:TGID_X_EN: 1
; COMPUTE_PGM_RSRC2:TGID_Y_EN: 0
; COMPUTE_PGM_RSRC2:TGID_Z_EN: 0
; COMPUTE_PGM_RSRC2:TIDIG_COMP_CNT: 0
; COMPUTE_PGM_RSRC3_GFX90A:ACCUM_OFFSET: 15
; COMPUTE_PGM_RSRC3_GFX90A:TG_SPLIT: 0
	.section	.text._Z23fp32_router_gemm_kernelI14__hip_bfloat16Li128ELi1ELi256ELi3072EEvPfPKT_PKf,"axG",@progbits,_Z23fp32_router_gemm_kernelI14__hip_bfloat16Li128ELi1ELi256ELi3072EEvPfPKT_PKf,comdat
	.protected	_Z23fp32_router_gemm_kernelI14__hip_bfloat16Li128ELi1ELi256ELi3072EEvPfPKT_PKf ; -- Begin function _Z23fp32_router_gemm_kernelI14__hip_bfloat16Li128ELi1ELi256ELi3072EEvPfPKT_PKf
	.globl	_Z23fp32_router_gemm_kernelI14__hip_bfloat16Li128ELi1ELi256ELi3072EEvPfPKT_PKf
	.p2align	8
	.type	_Z23fp32_router_gemm_kernelI14__hip_bfloat16Li128ELi1ELi256ELi3072EEvPfPKT_PKf,@function
_Z23fp32_router_gemm_kernelI14__hip_bfloat16Li128ELi1ELi256ELi3072EEvPfPKT_PKf: ; @_Z23fp32_router_gemm_kernelI14__hip_bfloat16Li128ELi1ELi256ELi3072EEvPfPKT_PKf
; %bb.0:
	s_load_dwordx4 s[0:3], s[4:5], 0x0
	s_load_dwordx2 s[8:9], s[4:5], 0x10
	s_mul_i32 s4, s6, 0xc00
	s_ashr_i32 s5, s4, 31
	s_lshl_b64 s[4:5], s[4:5], 2
	v_lshlrev_b32_e32 v1, 4, v0
	s_waitcnt lgkmcnt(0)
	s_add_u32 s4, s8, s4
	global_load_dwordx4 v[2:5], v1, s[2:3]
	global_load_dwordx4 v[6:9], v1, s[2:3] offset:2048
	v_lshlrev_b32_e32 v22, 5, v0
	s_addc_u32 s5, s9, s5
	v_mov_b32_e32 v18, s3
	global_load_dwordx4 v[10:13], v22, s[4:5] offset:16
	global_load_dwordx4 v[14:17], v22, s[4:5]
	v_add_co_u32_e32 v1, vcc, s2, v1
	s_movk_i32 s7, 0x1000
	v_addc_co_u32_e32 v19, vcc, 0, v18, vcc
	v_add_co_u32_e32 v18, vcc, s7, v1
	v_addc_co_u32_e32 v19, vcc, 0, v19, vcc
	v_mov_b32_e32 v23, s5
	v_add_co_u32_e32 v1, vcc, s4, v22
	s_movk_i32 s10, 0x2000
	v_addc_co_u32_e32 v26, vcc, 0, v23, vcc
	v_add_co_u32_e32 v38, vcc, s10, v1
	v_addc_co_u32_e32 v39, vcc, 0, v26, vcc
	global_load_dwordx4 v[22:25], v[38:39], off offset:-4096
	v_add_co_u32_e32 v40, vcc, s7, v1
	global_load_dwordx4 v[18:21], v[18:19], off
	v_addc_co_u32_e32 v41, vcc, 0, v26, vcc
	global_load_dwordx4 v[26:29], v[40:41], off offset:16
	global_load_dwordx4 v[30:33], v[38:39], off
	global_load_dwordx4 v[34:37], v[38:39], off offset:16
	s_waitcnt vmcnt(8)
	v_lshlrev_b32_e32 v1, 16, v2
	v_and_b32_e32 v2, 0xffff0000, v2
	v_lshlrev_b32_e32 v38, 16, v3
	v_and_b32_e32 v3, 0xffff0000, v3
	v_lshlrev_b32_e32 v39, 16, v4
	s_waitcnt vmcnt(5)
	v_mul_f32_e32 v1, v14, v1
	v_mul_f32_e32 v2, v15, v2
	v_add_f32_e32 v1, 0, v1
	v_mul_f32_e32 v14, v16, v38
	v_add_f32_e32 v1, v1, v2
	;; [unrolled: 2-line block ×3, first 2 shown]
	v_and_b32_e32 v4, 0xffff0000, v4
	v_mul_f32_e32 v10, v10, v39
	v_add_f32_e32 v1, v1, v3
	v_lshlrev_b32_e32 v40, 16, v5
	v_mul_f32_e32 v4, v11, v4
	v_add_f32_e32 v1, v1, v10
	v_and_b32_e32 v5, 0xffff0000, v5
	v_mul_f32_e32 v11, v12, v40
	v_add_f32_e32 v1, v1, v4
	v_lshlrev_b32_e32 v41, 16, v6
	v_mul_f32_e32 v5, v13, v5
	v_add_f32_e32 v1, v1, v11
	v_and_b32_e32 v6, 0xffff0000, v6
	s_waitcnt vmcnt(4)
	v_mul_f32_e32 v2, v22, v41
	v_add_f32_e32 v1, v1, v5
	v_lshlrev_b32_e32 v42, 16, v7
	v_mul_f32_e32 v6, v23, v6
	v_add_f32_e32 v1, v1, v2
	v_and_b32_e32 v7, 0xffff0000, v7
	v_mul_f32_e32 v14, v24, v42
	v_add_f32_e32 v1, v1, v6
	v_lshlrev_b32_e32 v43, 16, v8
	v_mul_f32_e32 v7, v25, v7
	v_add_f32_e32 v1, v1, v14
	v_and_b32_e32 v8, 0xffff0000, v8
	s_waitcnt vmcnt(3)
	v_lshlrev_b32_e32 v12, 16, v18
	v_and_b32_e32 v13, 0xffff0000, v18
	v_lshlrev_b32_e32 v15, 16, v19
	v_and_b32_e32 v16, 0xffff0000, v19
	;; [unrolled: 2-line block ×4, first 2 shown]
	s_waitcnt vmcnt(2)
	v_mul_f32_e32 v21, v26, v43
	v_add_f32_e32 v1, v1, v7
	v_lshlrev_b32_e32 v44, 16, v9
	v_mul_f32_e32 v8, v27, v8
	v_add_f32_e32 v1, v1, v21
	v_and_b32_e32 v9, 0xffff0000, v9
	v_mul_f32_e32 v22, v28, v44
	v_add_f32_e32 v1, v1, v8
	v_mul_f32_e32 v9, v29, v9
	v_add_f32_e32 v1, v1, v22
	s_waitcnt vmcnt(1)
	v_mul_f32_e32 v12, v30, v12
	v_add_f32_e32 v1, v1, v9
	v_mul_f32_e32 v13, v31, v13
	v_add_f32_e32 v1, v1, v12
	;; [unrolled: 2-line block ×4, first 2 shown]
	v_add_f32_e32 v1, v1, v16
	s_waitcnt vmcnt(0)
	v_mul_f32_e32 v2, v34, v17
	v_add_f32_e32 v1, v1, v2
	v_mul_f32_e32 v2, v35, v18
	v_add_f32_e32 v1, v1, v2
	;; [unrolled: 2-line block ×4, first 2 shown]
	v_mbcnt_lo_u32_b32 v2, -1, 0
	v_mbcnt_hi_u32_b32 v2, -1, v2
	v_and_b32_e32 v4, 64, v2
	v_xor_b32_e32 v3, 16, v2
	v_add_u32_e32 v4, 64, v4
	v_cmp_lt_i32_e32 vcc, v3, v4
	v_cndmask_b32_e32 v3, v2, v3, vcc
	v_lshlrev_b32_e32 v3, 2, v3
	ds_bpermute_b32 v3, v3, v1
	s_waitcnt lgkmcnt(0)
	v_add_f32_e32 v1, v1, v3
	v_xor_b32_e32 v3, 8, v2
	v_cmp_lt_i32_e32 vcc, v3, v4
	v_cndmask_b32_e32 v3, v2, v3, vcc
	v_lshlrev_b32_e32 v3, 2, v3
	ds_bpermute_b32 v3, v3, v1
	s_waitcnt lgkmcnt(0)
	v_add_f32_e32 v1, v1, v3
	v_xor_b32_e32 v3, 4, v2
	;; [unrolled: 7-line block ×4, first 2 shown]
	v_cmp_lt_i32_e32 vcc, v3, v4
	v_cndmask_b32_e32 v2, v2, v3, vcc
	v_lshlrev_b32_e32 v2, 2, v2
	ds_bpermute_b32 v2, v2, v1
	v_and_b32_e32 v3, 31, v0
	v_cmp_eq_u32_e32 vcc, 0, v3
	s_and_saveexec_b64 s[2:3], vcc
	s_cbranch_execz .LBB32_2
; %bb.1:
	v_lshrrev_b32_e32 v3, 3, v0
	s_waitcnt lgkmcnt(0)
	v_add_f32_e32 v1, v1, v2
	ds_write_b32 v3, v1
.LBB32_2:
	s_or_b64 exec, exec, s[2:3]
	v_cmp_eq_u32_e32 vcc, 0, v0
	s_waitcnt lgkmcnt(0)
	s_barrier
	s_and_saveexec_b64 s[2:3], vcc
	s_cbranch_execz .LBB32_4
; %bb.3:
	v_mov_b32_e32 v4, 0
	ds_read_b128 v[0:3], v4
	s_ashr_i32 s7, s6, 31
	s_lshl_b64 s[2:3], s[6:7], 2
	s_add_u32 s0, s0, s2
	s_addc_u32 s1, s1, s3
	s_waitcnt lgkmcnt(0)
	v_add_f32_e32 v0, 0, v0
	v_add_f32_e32 v0, v0, v1
	;; [unrolled: 1-line block ×4, first 2 shown]
	global_store_dword v4, v0, s[0:1]
.LBB32_4:
	s_endpgm
	.section	.rodata,"a",@progbits
	.p2align	6, 0x0
	.amdhsa_kernel _Z23fp32_router_gemm_kernelI14__hip_bfloat16Li128ELi1ELi256ELi3072EEvPfPKT_PKf
		.amdhsa_group_segment_fixed_size 16
		.amdhsa_private_segment_fixed_size 0
		.amdhsa_kernarg_size 24
		.amdhsa_user_sgpr_count 6
		.amdhsa_user_sgpr_private_segment_buffer 1
		.amdhsa_user_sgpr_dispatch_ptr 0
		.amdhsa_user_sgpr_queue_ptr 0
		.amdhsa_user_sgpr_kernarg_segment_ptr 1
		.amdhsa_user_sgpr_dispatch_id 0
		.amdhsa_user_sgpr_flat_scratch_init 0
		.amdhsa_user_sgpr_kernarg_preload_length 0
		.amdhsa_user_sgpr_kernarg_preload_offset 0
		.amdhsa_user_sgpr_private_segment_size 0
		.amdhsa_uses_dynamic_stack 0
		.amdhsa_system_sgpr_private_segment_wavefront_offset 0
		.amdhsa_system_sgpr_workgroup_id_x 1
		.amdhsa_system_sgpr_workgroup_id_y 0
		.amdhsa_system_sgpr_workgroup_id_z 0
		.amdhsa_system_sgpr_workgroup_info 0
		.amdhsa_system_vgpr_workitem_id 0
		.amdhsa_next_free_vgpr 45
		.amdhsa_next_free_sgpr 11
		.amdhsa_accum_offset 48
		.amdhsa_reserve_vcc 1
		.amdhsa_reserve_flat_scratch 0
		.amdhsa_float_round_mode_32 0
		.amdhsa_float_round_mode_16_64 0
		.amdhsa_float_denorm_mode_32 3
		.amdhsa_float_denorm_mode_16_64 3
		.amdhsa_dx10_clamp 1
		.amdhsa_ieee_mode 1
		.amdhsa_fp16_overflow 0
		.amdhsa_tg_split 0
		.amdhsa_exception_fp_ieee_invalid_op 0
		.amdhsa_exception_fp_denorm_src 0
		.amdhsa_exception_fp_ieee_div_zero 0
		.amdhsa_exception_fp_ieee_overflow 0
		.amdhsa_exception_fp_ieee_underflow 0
		.amdhsa_exception_fp_ieee_inexact 0
		.amdhsa_exception_int_div_zero 0
	.end_amdhsa_kernel
	.section	.text._Z23fp32_router_gemm_kernelI14__hip_bfloat16Li128ELi1ELi256ELi3072EEvPfPKT_PKf,"axG",@progbits,_Z23fp32_router_gemm_kernelI14__hip_bfloat16Li128ELi1ELi256ELi3072EEvPfPKT_PKf,comdat
.Lfunc_end32:
	.size	_Z23fp32_router_gemm_kernelI14__hip_bfloat16Li128ELi1ELi256ELi3072EEvPfPKT_PKf, .Lfunc_end32-_Z23fp32_router_gemm_kernelI14__hip_bfloat16Li128ELi1ELi256ELi3072EEvPfPKT_PKf
                                        ; -- End function
	.section	.AMDGPU.csdata,"",@progbits
; Kernel info:
; codeLenInByte = 840
; NumSgprs: 15
; NumVgprs: 45
; NumAgprs: 0
; TotalNumVgprs: 45
; ScratchSize: 0
; MemoryBound: 0
; FloatMode: 240
; IeeeMode: 1
; LDSByteSize: 16 bytes/workgroup (compile time only)
; SGPRBlocks: 1
; VGPRBlocks: 5
; NumSGPRsForWavesPerEU: 15
; NumVGPRsForWavesPerEU: 45
; AccumOffset: 48
; Occupancy: 8
; WaveLimiterHint : 0
; COMPUTE_PGM_RSRC2:SCRATCH_EN: 0
; COMPUTE_PGM_RSRC2:USER_SGPR: 6
; COMPUTE_PGM_RSRC2:TRAP_HANDLER: 0
; COMPUTE_PGM_RSRC2:TGID_X_EN: 1
; COMPUTE_PGM_RSRC2:TGID_Y_EN: 0
; COMPUTE_PGM_RSRC2:TGID_Z_EN: 0
; COMPUTE_PGM_RSRC2:TIDIG_COMP_CNT: 0
; COMPUTE_PGM_RSRC3_GFX90A:ACCUM_OFFSET: 11
; COMPUTE_PGM_RSRC3_GFX90A:TG_SPLIT: 0
	.section	.text._Z23fp32_router_gemm_kernelI14__hip_bfloat16Li128ELi2ELi256ELi3072EEvPfPKT_PKf,"axG",@progbits,_Z23fp32_router_gemm_kernelI14__hip_bfloat16Li128ELi2ELi256ELi3072EEvPfPKT_PKf,comdat
	.protected	_Z23fp32_router_gemm_kernelI14__hip_bfloat16Li128ELi2ELi256ELi3072EEvPfPKT_PKf ; -- Begin function _Z23fp32_router_gemm_kernelI14__hip_bfloat16Li128ELi2ELi256ELi3072EEvPfPKT_PKf
	.globl	_Z23fp32_router_gemm_kernelI14__hip_bfloat16Li128ELi2ELi256ELi3072EEvPfPKT_PKf
	.p2align	8
	.type	_Z23fp32_router_gemm_kernelI14__hip_bfloat16Li128ELi2ELi256ELi3072EEvPfPKT_PKf,@function
_Z23fp32_router_gemm_kernelI14__hip_bfloat16Li128ELi2ELi256ELi3072EEvPfPKT_PKf: ; @_Z23fp32_router_gemm_kernelI14__hip_bfloat16Li128ELi2ELi256ELi3072EEvPfPKT_PKf
; %bb.0:
	s_load_dwordx4 s[0:3], s[4:5], 0x0
	s_load_dwordx2 s[8:9], s[4:5], 0x10
	s_mul_i32 s4, s6, 0xc00
	s_ashr_i32 s5, s4, 31
	s_lshl_b64 s[4:5], s[4:5], 2
	v_lshlrev_b32_e32 v1, 4, v0
	s_waitcnt lgkmcnt(0)
	s_add_u32 s4, s8, s4
	global_load_dwordx4 v[30:33], v1, s[2:3]
	global_load_dwordx4 v[34:37], v1, s[2:3] offset:2048
	s_addc_u32 s5, s9, s5
	v_lshlrev_b32_e32 v6, 5, v0
	global_load_dwordx4 v[2:5], v6, s[4:5]
	v_mov_b32_e32 v7, s3
	v_add_co_u32_e32 v1, vcc, s2, v1
	v_addc_co_u32_e32 v48, vcc, 0, v7, vcc
	s_movk_i32 s2, 0x1000
	v_add_co_u32_e32 v42, vcc, s2, v1
	v_addc_co_u32_e32 v43, vcc, 0, v48, vcc
	global_load_dwordx4 v[38:41], v[42:43], off
	global_load_dwordx4 v[22:25], v6, s[4:5] offset:16
	v_mov_b32_e32 v7, s5
	v_add_co_u32_e32 v6, vcc, s4, v6
	s_movk_i32 s3, 0x2000
	v_addc_co_u32_e32 v7, vcc, 0, v7, vcc
	v_add_co_u32_e32 v44, vcc, s3, v6
	v_addc_co_u32_e32 v45, vcc, 0, v7, vcc
	global_load_dwordx4 v[18:21], v[44:45], off offset:-4096
	v_add_co_u32_e32 v46, vcc, s2, v6
	v_addc_co_u32_e32 v47, vcc, 0, v7, vcc
	global_load_dwordx4 v[14:17], v[46:47], off offset:16
	global_load_dwordx4 v[10:13], v[44:45], off
	global_load_dwordx4 v[6:9], v[44:45], off offset:16
	global_load_dwordx4 v[26:29], v[42:43], off offset:2048
	v_add_co_u32_e32 v42, vcc, s3, v1
	v_addc_co_u32_e32 v43, vcc, 0, v48, vcc
	s_waitcnt vmcnt(9)
	v_lshlrev_b32_e32 v1, 16, v30
	v_and_b32_e32 v30, 0xffff0000, v30
	v_lshlrev_b32_e32 v44, 16, v31
	v_and_b32_e32 v45, 0xffff0000, v31
	s_waitcnt vmcnt(7)
	v_fma_f32 v58, v2, v1, 0
	v_lshlrev_b32_e32 v46, 16, v32
	v_and_b32_e32 v47, 0xffff0000, v32
	v_lshlrev_b32_e32 v48, 16, v33
	v_and_b32_e32 v49, 0xffff0000, v33
	v_lshlrev_b32_e32 v50, 16, v34
	v_and_b32_e32 v51, 0xffff0000, v34
	v_lshlrev_b32_e32 v52, 16, v35
	v_and_b32_e32 v53, 0xffff0000, v35
	v_lshlrev_b32_e32 v54, 16, v36
	v_and_b32_e32 v55, 0xffff0000, v36
	v_lshlrev_b32_e32 v56, 16, v37
	v_and_b32_e32 v57, 0xffff0000, v37
	v_fmac_f32_e32 v58, v3, v30
	global_load_dwordx4 v[34:37], v[42:43], off
	global_load_dwordx4 v[30:33], v[42:43], off offset:2048
	v_fmac_f32_e32 v58, v4, v44
	v_fmac_f32_e32 v58, v5, v45
	s_waitcnt vmcnt(7)
	v_fmac_f32_e32 v58, v22, v46
	v_fmac_f32_e32 v58, v23, v47
	;; [unrolled: 1-line block ×4, first 2 shown]
	v_lshlrev_b32_e32 v1, 16, v38
	s_waitcnt vmcnt(6)
	v_fmac_f32_e32 v58, v18, v50
	v_fmac_f32_e32 v58, v19, v51
	;; [unrolled: 1-line block ×4, first 2 shown]
	s_waitcnt vmcnt(5)
	v_fmac_f32_e32 v58, v14, v54
	v_fmac_f32_e32 v58, v15, v55
	;; [unrolled: 1-line block ×4, first 2 shown]
	v_and_b32_e32 v38, 0xffff0000, v38
	s_waitcnt vmcnt(4)
	v_fmac_f32_e32 v58, v10, v1
	v_lshlrev_b32_e32 v59, 16, v39
	v_mbcnt_lo_u32_b32 v42, -1, 0
	v_fmac_f32_e32 v58, v11, v38
	v_and_b32_e32 v39, 0xffff0000, v39
	v_mbcnt_hi_u32_b32 v42, -1, v42
	v_fmac_f32_e32 v58, v12, v59
	v_lshlrev_b32_e32 v60, 16, v40
	v_and_b32_e32 v44, 64, v42
	v_fmac_f32_e32 v58, v13, v39
	v_and_b32_e32 v40, 0xffff0000, v40
	v_xor_b32_e32 v43, 16, v42
	v_add_u32_e32 v44, 64, v44
	s_waitcnt vmcnt(3)
	v_fmac_f32_e32 v58, v6, v60
	v_lshlrev_b32_e32 v61, 16, v41
	v_cmp_lt_i32_e32 vcc, v43, v44
	v_fmac_f32_e32 v58, v7, v40
	v_and_b32_e32 v41, 0xffff0000, v41
	v_cndmask_b32_e32 v43, v42, v43, vcc
	v_fmac_f32_e32 v58, v8, v61
	v_fmac_f32_e32 v58, v9, v41
	v_lshlrev_b32_e32 v1, 2, v43
	ds_bpermute_b32 v39, v1, v58
	v_xor_b32_e32 v38, 8, v42
	v_cmp_lt_i32_e32 vcc, v38, v44
	v_cndmask_b32_e32 v38, v42, v38, vcc
	v_lshlrev_b32_e32 v38, 2, v38
	s_waitcnt lgkmcnt(0)
	v_add_f32_e32 v40, v58, v39
	ds_bpermute_b32 v41, v38, v40
	v_xor_b32_e32 v39, 4, v42
	v_cmp_lt_i32_e32 vcc, v39, v44
	v_cndmask_b32_e32 v39, v42, v39, vcc
	v_lshlrev_b32_e32 v39, 2, v39
	s_waitcnt lgkmcnt(0)
	v_add_f32_e32 v41, v40, v41
	;; [unrolled: 7-line block ×4, first 2 shown]
	ds_bpermute_b32 v44, v42, v43
	v_lshrrev_b32_e32 v41, 5, v0
	v_and_b32_e32 v45, 31, v0
	v_cmp_eq_u32_e32 vcc, 0, v45
	v_lshlrev_b32_e32 v41, 2, v41
	s_and_saveexec_b64 s[2:3], vcc
	s_cbranch_execz .LBB33_2
; %bb.1:
	s_waitcnt lgkmcnt(0)
	v_add_f32_e32 v43, v43, v44
	ds_write_b32 v41, v43
.LBB33_2:
	s_or_b64 exec, exec, s[2:3]
	s_waitcnt vmcnt(2)
	v_lshlrev_b32_e32 v43, 16, v26
	v_and_b32_e32 v26, 0xffff0000, v26
	v_fma_f32 v2, v2, v43, 0
	s_waitcnt lgkmcnt(0)
	v_lshlrev_b32_e32 v44, 16, v27
	v_fmac_f32_e32 v2, v3, v26
	v_and_b32_e32 v27, 0xffff0000, v27
	v_fmac_f32_e32 v2, v4, v44
	v_lshlrev_b32_e32 v45, 16, v28
	v_fmac_f32_e32 v2, v5, v27
	v_and_b32_e32 v28, 0xffff0000, v28
	v_fmac_f32_e32 v2, v22, v45
	;; [unrolled: 4-line block ×3, first 2 shown]
	v_fmac_f32_e32 v2, v25, v29
	s_waitcnt vmcnt(1)
	v_lshlrev_b32_e32 v3, 16, v34
	v_and_b32_e32 v4, 0xffff0000, v34
	v_fmac_f32_e32 v2, v18, v3
	v_lshlrev_b32_e32 v5, 16, v35
	v_fmac_f32_e32 v2, v19, v4
	v_and_b32_e32 v22, 0xffff0000, v35
	v_fmac_f32_e32 v2, v20, v5
	v_lshlrev_b32_e32 v23, 16, v36
	v_fmac_f32_e32 v2, v21, v22
	;; [unrolled: 4-line block ×3, first 2 shown]
	v_and_b32_e32 v26, 0xffff0000, v37
	v_fmac_f32_e32 v2, v16, v25
	v_fmac_f32_e32 v2, v17, v26
	s_waitcnt vmcnt(0)
	v_lshlrev_b32_e32 v3, 16, v30
	v_and_b32_e32 v4, 0xffff0000, v30
	v_fmac_f32_e32 v2, v10, v3
	v_lshlrev_b32_e32 v5, 16, v31
	v_fmac_f32_e32 v2, v11, v4
	v_and_b32_e32 v14, 0xffff0000, v31
	v_fmac_f32_e32 v2, v12, v5
	v_lshlrev_b32_e32 v15, 16, v32
	v_fmac_f32_e32 v2, v13, v14
	;; [unrolled: 4-line block ×3, first 2 shown]
	v_and_b32_e32 v18, 0xffff0000, v33
	v_fmac_f32_e32 v2, v8, v17
	v_fmac_f32_e32 v2, v9, v18
	ds_bpermute_b32 v1, v1, v2
	s_waitcnt lgkmcnt(0)
	v_add_f32_e32 v1, v2, v1
	ds_bpermute_b32 v2, v38, v1
	s_waitcnt lgkmcnt(0)
	v_add_f32_e32 v1, v1, v2
	;; [unrolled: 3-line block ×4, first 2 shown]
	ds_bpermute_b32 v2, v42, v1
	s_and_saveexec_b64 s[2:3], vcc
	s_cbranch_execz .LBB33_4
; %bb.3:
	s_waitcnt lgkmcnt(0)
	v_add_f32_e32 v1, v1, v2
	ds_write_b32 v41, v1 offset:16
.LBB33_4:
	s_or_b64 exec, exec, s[2:3]
	v_cmp_eq_u32_e32 vcc, 0, v0
	s_waitcnt lgkmcnt(0)
	s_barrier
	s_and_saveexec_b64 s[2:3], vcc
	s_cbranch_execz .LBB33_6
; %bb.5:
	v_mov_b32_e32 v8, 0
	ds_read_b128 v[0:3], v8
	ds_read_b128 v[4:7], v8 offset:16
	s_ashr_i32 s7, s6, 31
	s_lshl_b64 s[2:3], s[6:7], 2
	s_add_u32 s0, s0, s2
	s_waitcnt lgkmcnt(1)
	v_add_f32_e32 v0, 0, v0
	v_add_f32_e32 v0, v0, v1
	;; [unrolled: 1-line block ×4, first 2 shown]
	s_addc_u32 s1, s1, s3
	global_store_dword v8, v0, s[0:1]
	s_waitcnt lgkmcnt(0)
	v_add_f32_e32 v0, 0, v4
	v_add_f32_e32 v0, v0, v5
	;; [unrolled: 1-line block ×4, first 2 shown]
	global_store_dword v8, v0, s[0:1] offset:1024
.LBB33_6:
	s_endpgm
	.section	.rodata,"a",@progbits
	.p2align	6, 0x0
	.amdhsa_kernel _Z23fp32_router_gemm_kernelI14__hip_bfloat16Li128ELi2ELi256ELi3072EEvPfPKT_PKf
		.amdhsa_group_segment_fixed_size 32
		.amdhsa_private_segment_fixed_size 0
		.amdhsa_kernarg_size 24
		.amdhsa_user_sgpr_count 6
		.amdhsa_user_sgpr_private_segment_buffer 1
		.amdhsa_user_sgpr_dispatch_ptr 0
		.amdhsa_user_sgpr_queue_ptr 0
		.amdhsa_user_sgpr_kernarg_segment_ptr 1
		.amdhsa_user_sgpr_dispatch_id 0
		.amdhsa_user_sgpr_flat_scratch_init 0
		.amdhsa_user_sgpr_kernarg_preload_length 0
		.amdhsa_user_sgpr_kernarg_preload_offset 0
		.amdhsa_user_sgpr_private_segment_size 0
		.amdhsa_uses_dynamic_stack 0
		.amdhsa_system_sgpr_private_segment_wavefront_offset 0
		.amdhsa_system_sgpr_workgroup_id_x 1
		.amdhsa_system_sgpr_workgroup_id_y 0
		.amdhsa_system_sgpr_workgroup_id_z 0
		.amdhsa_system_sgpr_workgroup_info 0
		.amdhsa_system_vgpr_workitem_id 0
		.amdhsa_next_free_vgpr 62
		.amdhsa_next_free_sgpr 10
		.amdhsa_accum_offset 64
		.amdhsa_reserve_vcc 1
		.amdhsa_reserve_flat_scratch 0
		.amdhsa_float_round_mode_32 0
		.amdhsa_float_round_mode_16_64 0
		.amdhsa_float_denorm_mode_32 3
		.amdhsa_float_denorm_mode_16_64 3
		.amdhsa_dx10_clamp 1
		.amdhsa_ieee_mode 1
		.amdhsa_fp16_overflow 0
		.amdhsa_tg_split 0
		.amdhsa_exception_fp_ieee_invalid_op 0
		.amdhsa_exception_fp_denorm_src 0
		.amdhsa_exception_fp_ieee_div_zero 0
		.amdhsa_exception_fp_ieee_overflow 0
		.amdhsa_exception_fp_ieee_underflow 0
		.amdhsa_exception_fp_ieee_inexact 0
		.amdhsa_exception_int_div_zero 0
	.end_amdhsa_kernel
	.section	.text._Z23fp32_router_gemm_kernelI14__hip_bfloat16Li128ELi2ELi256ELi3072EEvPfPKT_PKf,"axG",@progbits,_Z23fp32_router_gemm_kernelI14__hip_bfloat16Li128ELi2ELi256ELi3072EEvPfPKT_PKf,comdat
.Lfunc_end33:
	.size	_Z23fp32_router_gemm_kernelI14__hip_bfloat16Li128ELi2ELi256ELi3072EEvPfPKT_PKf, .Lfunc_end33-_Z23fp32_router_gemm_kernelI14__hip_bfloat16Li128ELi2ELi256ELi3072EEvPfPKT_PKf
                                        ; -- End function
	.section	.AMDGPU.csdata,"",@progbits
; Kernel info:
; codeLenInByte = 1180
; NumSgprs: 14
; NumVgprs: 62
; NumAgprs: 0
; TotalNumVgprs: 62
; ScratchSize: 0
; MemoryBound: 0
; FloatMode: 240
; IeeeMode: 1
; LDSByteSize: 32 bytes/workgroup (compile time only)
; SGPRBlocks: 1
; VGPRBlocks: 7
; NumSGPRsForWavesPerEU: 14
; NumVGPRsForWavesPerEU: 62
; AccumOffset: 64
; Occupancy: 8
; WaveLimiterHint : 1
; COMPUTE_PGM_RSRC2:SCRATCH_EN: 0
; COMPUTE_PGM_RSRC2:USER_SGPR: 6
; COMPUTE_PGM_RSRC2:TRAP_HANDLER: 0
; COMPUTE_PGM_RSRC2:TGID_X_EN: 1
; COMPUTE_PGM_RSRC2:TGID_Y_EN: 0
; COMPUTE_PGM_RSRC2:TGID_Z_EN: 0
; COMPUTE_PGM_RSRC2:TIDIG_COMP_CNT: 0
; COMPUTE_PGM_RSRC3_GFX90A:ACCUM_OFFSET: 15
; COMPUTE_PGM_RSRC3_GFX90A:TG_SPLIT: 0
	.section	.text._Z23fp32_router_gemm_kernelI14__hip_bfloat16Li128ELi3ELi256ELi3072EEvPfPKT_PKf,"axG",@progbits,_Z23fp32_router_gemm_kernelI14__hip_bfloat16Li128ELi3ELi256ELi3072EEvPfPKT_PKf,comdat
	.protected	_Z23fp32_router_gemm_kernelI14__hip_bfloat16Li128ELi3ELi256ELi3072EEvPfPKT_PKf ; -- Begin function _Z23fp32_router_gemm_kernelI14__hip_bfloat16Li128ELi3ELi256ELi3072EEvPfPKT_PKf
	.globl	_Z23fp32_router_gemm_kernelI14__hip_bfloat16Li128ELi3ELi256ELi3072EEvPfPKT_PKf
	.p2align	8
	.type	_Z23fp32_router_gemm_kernelI14__hip_bfloat16Li128ELi3ELi256ELi3072EEvPfPKT_PKf,@function
_Z23fp32_router_gemm_kernelI14__hip_bfloat16Li128ELi3ELi256ELi3072EEvPfPKT_PKf: ; @_Z23fp32_router_gemm_kernelI14__hip_bfloat16Li128ELi3ELi256ELi3072EEvPfPKT_PKf
; %bb.0:
	s_load_dwordx4 s[0:3], s[4:5], 0x0
	s_load_dwordx2 s[8:9], s[4:5], 0x10
	v_lshlrev_b32_e32 v1, 4, v0
	s_movk_i32 s4, 0x1000
	v_lshlrev_b32_e32 v4, 5, v0
	s_waitcnt lgkmcnt(0)
	global_load_dwordx4 v[26:29], v1, s[2:3]
	global_load_dwordx4 v[30:33], v1, s[2:3] offset:2048
	v_add_co_u32_e32 v1, vcc, s2, v1
	s_mul_i32 s2, s6, 0xc00
	v_mov_b32_e32 v2, s3
	s_ashr_i32 s3, s2, 31
	v_addc_co_u32_e32 v46, vcc, 0, v2, vcc
	s_lshl_b64 s[2:3], s[2:3], 2
	v_add_co_u32_e32 v2, vcc, s4, v1
	s_add_u32 s2, s8, s2
	v_addc_co_u32_e32 v3, vcc, 0, v46, vcc
	s_addc_u32 s3, s9, s3
	global_load_dwordx4 v[34:37], v[2:3], off
	global_load_dwordx4 v[18:21], v4, s[2:3] offset:16
	global_load_dwordx4 v[22:25], v4, s[2:3]
	v_mov_b32_e32 v5, s3
	v_add_co_u32_e32 v4, vcc, s2, v4
	s_movk_i32 s5, 0x2000
	v_addc_co_u32_e32 v5, vcc, 0, v5, vcc
	v_add_co_u32_e32 v42, vcc, s5, v4
	v_addc_co_u32_e32 v43, vcc, 0, v5, vcc
	global_load_dwordx4 v[14:17], v[42:43], off offset:-4096
	v_add_co_u32_e32 v4, vcc, s4, v4
	v_addc_co_u32_e32 v5, vcc, 0, v5, vcc
	global_load_dwordx4 v[10:13], v[4:5], off offset:16
	global_load_dwordx4 v[38:41], v[2:3], off offset:2048
	global_load_dwordx4 v[6:9], v[42:43], off
	s_nop 0
	global_load_dwordx4 v[2:5], v[42:43], off offset:16
	s_movk_i32 s2, 0x3000
	v_add_co_u32_e32 v44, vcc, s2, v1
	s_movk_i32 s3, 0x4000
	v_addc_co_u32_e32 v45, vcc, 0, v46, vcc
	v_add_co_u32_e32 v50, vcc, s3, v1
	v_addc_co_u32_e32 v51, vcc, 0, v46, vcc
	s_waitcnt vmcnt(9)
	v_lshlrev_b32_e32 v42, 16, v26
	v_and_b32_e32 v26, 0xffff0000, v26
	v_lshlrev_b32_e32 v43, 16, v27
	v_and_b32_e32 v47, 0xffff0000, v27
	;; [unrolled: 2-line block ×4, first 2 shown]
	s_waitcnt vmcnt(8)
	v_lshlrev_b32_e32 v54, 16, v30
	v_and_b32_e32 v55, 0xffff0000, v30
	v_lshlrev_b32_e32 v56, 16, v31
	v_and_b32_e32 v57, 0xffff0000, v31
	v_lshlrev_b32_e32 v58, 16, v32
	v_add_co_u32_e32 v30, vcc, s5, v1
	v_and_b32_e32 v32, 0xffff0000, v32
	v_addc_co_u32_e32 v31, vcc, 0, v46, vcc
	s_waitcnt vmcnt(5)
	v_fma_f32 v69, v22, v42, 0
	v_fmac_f32_e32 v69, v23, v26
	v_fmac_f32_e32 v69, v24, v43
	v_fmac_f32_e32 v69, v25, v47
	v_fmac_f32_e32 v69, v18, v48
	v_fmac_f32_e32 v69, v19, v49
	v_fmac_f32_e32 v69, v20, v52
	v_fmac_f32_e32 v69, v21, v53
	v_lshlrev_b32_e32 v59, 16, v33
	v_and_b32_e32 v60, 0xffff0000, v33
	s_waitcnt vmcnt(4)
	v_fmac_f32_e32 v69, v14, v54
	v_fmac_f32_e32 v69, v15, v55
	;; [unrolled: 1-line block ×4, first 2 shown]
	s_waitcnt vmcnt(3)
	v_fmac_f32_e32 v69, v10, v58
	v_lshlrev_b32_e32 v61, 16, v34
	v_and_b32_e32 v62, 0xffff0000, v34
	v_lshlrev_b32_e32 v63, 16, v35
	v_and_b32_e32 v64, 0xffff0000, v35
	;; [unrolled: 2-line block ×4, first 2 shown]
	global_load_dwordx4 v[26:29], v[44:45], off offset:2048
	global_load_dwordx4 v[46:49], v[30:31], off
	s_nop 0
	global_load_dwordx4 v[42:45], v[30:31], off offset:2048
	v_fmac_f32_e32 v69, v11, v32
	global_load_dwordx4 v[34:37], v[50:51], off offset:-4096
	global_load_dwordx4 v[30:33], v[50:51], off
	v_fmac_f32_e32 v69, v12, v59
	v_fmac_f32_e32 v69, v13, v60
	s_waitcnt vmcnt(6)
	v_fmac_f32_e32 v69, v6, v61
	v_fmac_f32_e32 v69, v7, v62
	v_mbcnt_lo_u32_b32 v1, -1, 0
	v_fmac_f32_e32 v69, v8, v63
	v_mbcnt_hi_u32_b32 v53, -1, v1
	v_fmac_f32_e32 v69, v9, v64
	v_and_b32_e32 v50, 64, v53
	s_waitcnt vmcnt(5)
	v_fmac_f32_e32 v69, v2, v65
	v_xor_b32_e32 v1, 16, v53
	v_add_u32_e32 v54, 64, v50
	v_fmac_f32_e32 v69, v3, v66
	v_cmp_lt_i32_e32 vcc, v1, v54
	v_fmac_f32_e32 v69, v4, v67
	v_cndmask_b32_e32 v1, v53, v1, vcc
	v_fmac_f32_e32 v69, v5, v68
	v_lshlrev_b32_e32 v1, 2, v1
	ds_bpermute_b32 v51, v1, v69
	v_xor_b32_e32 v50, 8, v53
	v_cmp_lt_i32_e32 vcc, v50, v54
	v_cndmask_b32_e32 v50, v53, v50, vcc
	v_lshlrev_b32_e32 v50, 2, v50
	s_waitcnt lgkmcnt(0)
	v_add_f32_e32 v52, v69, v51
	ds_bpermute_b32 v55, v50, v52
	v_xor_b32_e32 v51, 4, v53
	v_cmp_lt_i32_e32 vcc, v51, v54
	v_cndmask_b32_e32 v51, v53, v51, vcc
	v_lshlrev_b32_e32 v51, 2, v51
	s_waitcnt lgkmcnt(0)
	v_add_f32_e32 v55, v52, v55
	;; [unrolled: 7-line block ×4, first 2 shown]
	ds_bpermute_b32 v56, v54, v55
	v_lshrrev_b32_e32 v53, 5, v0
	v_and_b32_e32 v57, 31, v0
	v_cmp_eq_u32_e32 vcc, 0, v57
	v_lshlrev_b32_e32 v53, 2, v53
	s_and_saveexec_b64 s[2:3], vcc
	s_cbranch_execz .LBB34_2
; %bb.1:
	s_waitcnt lgkmcnt(0)
	v_add_f32_e32 v55, v55, v56
	ds_write_b32 v53, v55
.LBB34_2:
	s_or_b64 exec, exec, s[2:3]
	v_lshlrev_b32_e32 v55, 16, v38
	v_and_b32_e32 v38, 0xffff0000, v38
	v_fma_f32 v55, v22, v55, 0
	s_waitcnt lgkmcnt(0)
	v_lshlrev_b32_e32 v56, 16, v39
	v_fmac_f32_e32 v55, v23, v38
	v_and_b32_e32 v39, 0xffff0000, v39
	v_fmac_f32_e32 v55, v24, v56
	v_lshlrev_b32_e32 v57, 16, v40
	v_fmac_f32_e32 v55, v25, v39
	v_and_b32_e32 v40, 0xffff0000, v40
	v_fmac_f32_e32 v55, v18, v57
	;; [unrolled: 4-line block ×3, first 2 shown]
	v_fmac_f32_e32 v55, v21, v41
	s_waitcnt vmcnt(3)
	v_lshlrev_b32_e32 v38, 16, v46
	v_and_b32_e32 v39, 0xffff0000, v46
	v_fmac_f32_e32 v55, v14, v38
	v_lshlrev_b32_e32 v40, 16, v47
	v_fmac_f32_e32 v55, v15, v39
	v_and_b32_e32 v41, 0xffff0000, v47
	v_fmac_f32_e32 v55, v16, v40
	v_lshlrev_b32_e32 v46, 16, v48
	v_fmac_f32_e32 v55, v17, v41
	;; [unrolled: 4-line block ×3, first 2 shown]
	v_and_b32_e32 v49, 0xffff0000, v49
	v_fmac_f32_e32 v55, v12, v48
	v_fmac_f32_e32 v55, v13, v49
	s_waitcnt vmcnt(2)
	v_lshlrev_b32_e32 v38, 16, v42
	v_and_b32_e32 v39, 0xffff0000, v42
	v_fmac_f32_e32 v55, v6, v38
	v_lshlrev_b32_e32 v40, 16, v43
	v_fmac_f32_e32 v55, v7, v39
	v_and_b32_e32 v41, 0xffff0000, v43
	v_fmac_f32_e32 v55, v8, v40
	v_lshlrev_b32_e32 v42, 16, v44
	v_fmac_f32_e32 v55, v9, v41
	;; [unrolled: 4-line block ×3, first 2 shown]
	v_and_b32_e32 v45, 0xffff0000, v45
	v_fmac_f32_e32 v55, v4, v44
	v_fmac_f32_e32 v55, v5, v45
	ds_bpermute_b32 v38, v1, v55
	s_waitcnt lgkmcnt(0)
	v_add_f32_e32 v38, v55, v38
	ds_bpermute_b32 v39, v50, v38
	s_waitcnt lgkmcnt(0)
	v_add_f32_e32 v38, v38, v39
	;; [unrolled: 3-line block ×4, first 2 shown]
	ds_bpermute_b32 v39, v54, v38
	s_and_saveexec_b64 s[2:3], vcc
	s_cbranch_execz .LBB34_4
; %bb.3:
	s_waitcnt lgkmcnt(0)
	v_add_f32_e32 v38, v38, v39
	ds_write_b32 v53, v38 offset:16
.LBB34_4:
	s_or_b64 exec, exec, s[2:3]
	s_waitcnt vmcnt(1)
	v_lshlrev_b32_e32 v38, 16, v34
	v_and_b32_e32 v34, 0xffff0000, v34
	v_fma_f32 v22, v22, v38, 0
	s_waitcnt lgkmcnt(0)
	v_lshlrev_b32_e32 v39, 16, v35
	v_fmac_f32_e32 v22, v23, v34
	v_and_b32_e32 v35, 0xffff0000, v35
	v_fmac_f32_e32 v22, v24, v39
	v_lshlrev_b32_e32 v40, 16, v36
	v_fmac_f32_e32 v22, v25, v35
	v_and_b32_e32 v36, 0xffff0000, v36
	v_fmac_f32_e32 v22, v18, v40
	;; [unrolled: 4-line block ×3, first 2 shown]
	v_fmac_f32_e32 v22, v21, v37
	v_lshlrev_b32_e32 v18, 16, v26
	v_and_b32_e32 v19, 0xffff0000, v26
	v_fmac_f32_e32 v22, v14, v18
	v_lshlrev_b32_e32 v20, 16, v27
	v_fmac_f32_e32 v22, v15, v19
	v_and_b32_e32 v21, 0xffff0000, v27
	v_fmac_f32_e32 v22, v16, v20
	v_lshlrev_b32_e32 v23, 16, v28
	v_fmac_f32_e32 v22, v17, v21
	;; [unrolled: 4-line block ×3, first 2 shown]
	v_and_b32_e32 v26, 0xffff0000, v29
	v_fmac_f32_e32 v22, v12, v25
	v_fmac_f32_e32 v22, v13, v26
	s_waitcnt vmcnt(0)
	v_lshlrev_b32_e32 v10, 16, v30
	v_and_b32_e32 v11, 0xffff0000, v30
	v_fmac_f32_e32 v22, v6, v10
	v_lshlrev_b32_e32 v12, 16, v31
	v_fmac_f32_e32 v22, v7, v11
	v_and_b32_e32 v13, 0xffff0000, v31
	v_fmac_f32_e32 v22, v8, v12
	v_lshlrev_b32_e32 v14, 16, v32
	v_fmac_f32_e32 v22, v9, v13
	;; [unrolled: 4-line block ×3, first 2 shown]
	v_and_b32_e32 v17, 0xffff0000, v33
	v_fmac_f32_e32 v22, v4, v16
	v_fmac_f32_e32 v22, v5, v17
	ds_bpermute_b32 v1, v1, v22
	s_waitcnt lgkmcnt(0)
	v_add_f32_e32 v1, v22, v1
	ds_bpermute_b32 v2, v50, v1
	s_waitcnt lgkmcnt(0)
	v_add_f32_e32 v1, v1, v2
	;; [unrolled: 3-line block ×4, first 2 shown]
	ds_bpermute_b32 v2, v54, v1
	s_and_saveexec_b64 s[2:3], vcc
	s_cbranch_execz .LBB34_6
; %bb.5:
	s_waitcnt lgkmcnt(0)
	v_add_f32_e32 v1, v1, v2
	ds_write_b32 v53, v1 offset:32
.LBB34_6:
	s_or_b64 exec, exec, s[2:3]
	v_cmp_eq_u32_e32 vcc, 0, v0
	s_waitcnt lgkmcnt(0)
	s_barrier
	s_and_saveexec_b64 s[2:3], vcc
	s_cbranch_execz .LBB34_8
; %bb.7:
	v_mov_b32_e32 v12, 0
	ds_read_b128 v[0:3], v12
	s_ashr_i32 s7, s6, 31
	ds_read_b128 v[4:7], v12 offset:16
	ds_read_b128 v[8:11], v12 offset:32
	s_lshl_b64 s[2:3], s[6:7], 2
	s_add_u32 s0, s0, s2
	s_waitcnt lgkmcnt(2)
	v_add_f32_e32 v0, 0, v0
	v_add_f32_e32 v0, v0, v1
	;; [unrolled: 1-line block ×4, first 2 shown]
	s_addc_u32 s1, s1, s3
	global_store_dword v12, v0, s[0:1]
	s_waitcnt lgkmcnt(1)
	v_add_f32_e32 v0, 0, v4
	v_add_f32_e32 v0, v0, v5
	;; [unrolled: 1-line block ×4, first 2 shown]
	global_store_dword v12, v0, s[0:1] offset:1024
	s_waitcnt lgkmcnt(0)
	v_add_f32_e32 v0, 0, v8
	v_add_f32_e32 v0, v0, v9
	;; [unrolled: 1-line block ×4, first 2 shown]
	global_store_dword v12, v0, s[0:1] offset:2048
.LBB34_8:
	s_endpgm
	.section	.rodata,"a",@progbits
	.p2align	6, 0x0
	.amdhsa_kernel _Z23fp32_router_gemm_kernelI14__hip_bfloat16Li128ELi3ELi256ELi3072EEvPfPKT_PKf
		.amdhsa_group_segment_fixed_size 48
		.amdhsa_private_segment_fixed_size 0
		.amdhsa_kernarg_size 24
		.amdhsa_user_sgpr_count 6
		.amdhsa_user_sgpr_private_segment_buffer 1
		.amdhsa_user_sgpr_dispatch_ptr 0
		.amdhsa_user_sgpr_queue_ptr 0
		.amdhsa_user_sgpr_kernarg_segment_ptr 1
		.amdhsa_user_sgpr_dispatch_id 0
		.amdhsa_user_sgpr_flat_scratch_init 0
		.amdhsa_user_sgpr_kernarg_preload_length 0
		.amdhsa_user_sgpr_kernarg_preload_offset 0
		.amdhsa_user_sgpr_private_segment_size 0
		.amdhsa_uses_dynamic_stack 0
		.amdhsa_system_sgpr_private_segment_wavefront_offset 0
		.amdhsa_system_sgpr_workgroup_id_x 1
		.amdhsa_system_sgpr_workgroup_id_y 0
		.amdhsa_system_sgpr_workgroup_id_z 0
		.amdhsa_system_sgpr_workgroup_info 0
		.amdhsa_system_vgpr_workitem_id 0
		.amdhsa_next_free_vgpr 70
		.amdhsa_next_free_sgpr 10
		.amdhsa_accum_offset 72
		.amdhsa_reserve_vcc 1
		.amdhsa_reserve_flat_scratch 0
		.amdhsa_float_round_mode_32 0
		.amdhsa_float_round_mode_16_64 0
		.amdhsa_float_denorm_mode_32 3
		.amdhsa_float_denorm_mode_16_64 3
		.amdhsa_dx10_clamp 1
		.amdhsa_ieee_mode 1
		.amdhsa_fp16_overflow 0
		.amdhsa_tg_split 0
		.amdhsa_exception_fp_ieee_invalid_op 0
		.amdhsa_exception_fp_denorm_src 0
		.amdhsa_exception_fp_ieee_div_zero 0
		.amdhsa_exception_fp_ieee_overflow 0
		.amdhsa_exception_fp_ieee_underflow 0
		.amdhsa_exception_fp_ieee_inexact 0
		.amdhsa_exception_int_div_zero 0
	.end_amdhsa_kernel
	.section	.text._Z23fp32_router_gemm_kernelI14__hip_bfloat16Li128ELi3ELi256ELi3072EEvPfPKT_PKf,"axG",@progbits,_Z23fp32_router_gemm_kernelI14__hip_bfloat16Li128ELi3ELi256ELi3072EEvPfPKT_PKf,comdat
.Lfunc_end34:
	.size	_Z23fp32_router_gemm_kernelI14__hip_bfloat16Li128ELi3ELi256ELi3072EEvPfPKT_PKf, .Lfunc_end34-_Z23fp32_router_gemm_kernelI14__hip_bfloat16Li128ELi3ELi256ELi3072EEvPfPKT_PKf
                                        ; -- End function
	.section	.AMDGPU.csdata,"",@progbits
; Kernel info:
; codeLenInByte = 1624
; NumSgprs: 14
; NumVgprs: 70
; NumAgprs: 0
; TotalNumVgprs: 70
; ScratchSize: 0
; MemoryBound: 0
; FloatMode: 240
; IeeeMode: 1
; LDSByteSize: 48 bytes/workgroup (compile time only)
; SGPRBlocks: 1
; VGPRBlocks: 8
; NumSGPRsForWavesPerEU: 14
; NumVGPRsForWavesPerEU: 70
; AccumOffset: 72
; Occupancy: 7
; WaveLimiterHint : 1
; COMPUTE_PGM_RSRC2:SCRATCH_EN: 0
; COMPUTE_PGM_RSRC2:USER_SGPR: 6
; COMPUTE_PGM_RSRC2:TRAP_HANDLER: 0
; COMPUTE_PGM_RSRC2:TGID_X_EN: 1
; COMPUTE_PGM_RSRC2:TGID_Y_EN: 0
; COMPUTE_PGM_RSRC2:TGID_Z_EN: 0
; COMPUTE_PGM_RSRC2:TIDIG_COMP_CNT: 0
; COMPUTE_PGM_RSRC3_GFX90A:ACCUM_OFFSET: 17
; COMPUTE_PGM_RSRC3_GFX90A:TG_SPLIT: 0
	.section	.text._Z23fp32_router_gemm_kernelI14__hip_bfloat16Li128ELi4ELi256ELi3072EEvPfPKT_PKf,"axG",@progbits,_Z23fp32_router_gemm_kernelI14__hip_bfloat16Li128ELi4ELi256ELi3072EEvPfPKT_PKf,comdat
	.protected	_Z23fp32_router_gemm_kernelI14__hip_bfloat16Li128ELi4ELi256ELi3072EEvPfPKT_PKf ; -- Begin function _Z23fp32_router_gemm_kernelI14__hip_bfloat16Li128ELi4ELi256ELi3072EEvPfPKT_PKf
	.globl	_Z23fp32_router_gemm_kernelI14__hip_bfloat16Li128ELi4ELi256ELi3072EEvPfPKT_PKf
	.p2align	8
	.type	_Z23fp32_router_gemm_kernelI14__hip_bfloat16Li128ELi4ELi256ELi3072EEvPfPKT_PKf,@function
_Z23fp32_router_gemm_kernelI14__hip_bfloat16Li128ELi4ELi256ELi3072EEvPfPKT_PKf: ; @_Z23fp32_router_gemm_kernelI14__hip_bfloat16Li128ELi4ELi256ELi3072EEvPfPKT_PKf
; %bb.0:
	s_load_dwordx4 s[8:11], s[4:5], 0x0
	s_load_dwordx2 s[0:1], s[4:5], 0x10
	s_mul_i32 s2, s6, 0xc00
	s_ashr_i32 s3, s2, 31
	s_lshl_b64 s[2:3], s[2:3], 2
	v_lshlrev_b32_e32 v1, 4, v0
	s_waitcnt lgkmcnt(0)
	s_add_u32 s0, s0, s2
	v_lshlrev_b32_e32 v2, 5, v0
	s_addc_u32 s1, s1, s3
	global_load_dwordx4 v[34:37], v1, s[10:11]
	global_load_dwordx4 v[38:41], v1, s[10:11] offset:2048
	v_mov_b32_e32 v3, s11
	v_add_co_u32_e32 v1, vcc, s10, v1
	global_load_dwordx4 v[14:17], v2, s[0:1] offset:16
	global_load_dwordx4 v[22:25], v2, s[0:1]
	s_movk_i32 s4, 0x1000
	v_addc_co_u32_e32 v30, vcc, 0, v3, vcc
	v_add_co_u32_e32 v50, vcc, s4, v1
	v_addc_co_u32_e32 v51, vcc, 0, v30, vcc
	v_mov_b32_e32 v3, s1
	v_add_co_u32_e32 v2, vcc, s0, v2
	s_movk_i32 s5, 0x2000
	v_addc_co_u32_e32 v3, vcc, 0, v3, vcc
	v_add_co_u32_e32 v26, vcc, s5, v2
	v_addc_co_u32_e32 v27, vcc, 0, v3, vcc
	global_load_dwordx4 v[18:21], v[26:27], off offset:-4096
	v_add_co_u32_e32 v28, vcc, s4, v2
	v_addc_co_u32_e32 v29, vcc, 0, v3, vcc
	global_load_dwordx4 v[46:49], v[50:51], off
	global_load_dwordx4 v[10:13], v[28:29], off offset:16
	global_load_dwordx4 v[6:9], v[26:27], off
	global_load_dwordx4 v[2:5], v[26:27], off offset:16
	s_movk_i32 s0, 0x3000
	v_add_co_u32_e32 v52, vcc, s0, v1
	s_movk_i32 s1, 0x4000
	v_addc_co_u32_e32 v53, vcc, 0, v30, vcc
	v_add_co_u32_e32 v64, vcc, s1, v1
	v_addc_co_u32_e32 v65, vcc, 0, v30, vcc
	v_add_co_u32_e32 v66, vcc, s5, v1
	s_movk_i32 s2, 0x5000
	v_addc_co_u32_e32 v67, vcc, 0, v30, vcc
	v_add_co_u32_e32 v68, vcc, s2, v1
	v_addc_co_u32_e32 v69, vcc, 0, v30, vcc
	global_load_dwordx4 v[42:45], v[50:51], off offset:2048
	global_load_dwordx4 v[26:29], v[64:65], off offset:2048
	;; [unrolled: 1-line block ×3, first 2 shown]
	s_waitcnt vmcnt(11)
	v_lshlrev_b32_e32 v1, 16, v34
	v_and_b32_e32 v34, 0xffff0000, v34
	v_lshlrev_b32_e32 v50, 16, v35
	v_and_b32_e32 v35, 0xffff0000, v35
	v_lshlrev_b32_e32 v51, 16, v36
	s_waitcnt vmcnt(8)
	v_fma_f32 v57, v22, v1, 0
	v_fmac_f32_e32 v57, v23, v34
	v_fmac_f32_e32 v57, v24, v50
	;; [unrolled: 1-line block ×3, first 2 shown]
	v_and_b32_e32 v36, 0xffff0000, v36
	v_fmac_f32_e32 v57, v14, v51
	v_lshlrev_b32_e32 v52, 16, v37
	v_fmac_f32_e32 v57, v15, v36
	v_and_b32_e32 v37, 0xffff0000, v37
	v_fmac_f32_e32 v57, v16, v52
	v_lshlrev_b32_e32 v53, 16, v38
	v_fmac_f32_e32 v57, v17, v37
	v_and_b32_e32 v38, 0xffff0000, v38
	v_lshlrev_b32_e32 v54, 16, v39
	v_and_b32_e32 v39, 0xffff0000, v39
	v_lshlrev_b32_e32 v55, 16, v40
	;; [unrolled: 2-line block ×3, first 2 shown]
	s_waitcnt vmcnt(7)
	v_fmac_f32_e32 v57, v18, v53
	v_fmac_f32_e32 v57, v19, v38
	;; [unrolled: 1-line block ×4, first 2 shown]
	s_waitcnt vmcnt(5)
	v_fmac_f32_e32 v57, v10, v55
	v_fmac_f32_e32 v57, v11, v40
	v_and_b32_e32 v41, 0xffff0000, v41
	v_fmac_f32_e32 v57, v12, v56
	v_lshlrev_b32_e32 v1, 16, v46
	v_fmac_f32_e32 v57, v13, v41
	v_and_b32_e32 v34, 0xffff0000, v46
	s_waitcnt vmcnt(4)
	v_fmac_f32_e32 v57, v6, v1
	v_lshlrev_b32_e32 v46, 16, v47
	v_fmac_f32_e32 v57, v7, v34
	v_mbcnt_lo_u32_b32 v1, -1, 0
	v_and_b32_e32 v47, 0xffff0000, v47
	v_fmac_f32_e32 v57, v8, v46
	v_mbcnt_hi_u32_b32 v70, -1, v1
	v_lshlrev_b32_e32 v58, 16, v48
	v_fmac_f32_e32 v57, v9, v47
	v_and_b32_e32 v34, 64, v70
	v_and_b32_e32 v35, 0xffff0000, v48
	s_waitcnt vmcnt(3)
	v_fmac_f32_e32 v57, v2, v58
	v_xor_b32_e32 v1, 16, v70
	v_add_u32_e32 v34, 64, v34
	v_lshlrev_b32_e32 v36, 16, v49
	v_fmac_f32_e32 v57, v3, v35
	v_cmp_lt_i32_e32 vcc, v1, v34
	v_and_b32_e32 v37, 0xffff0000, v49
	v_fmac_f32_e32 v57, v4, v36
	v_cndmask_b32_e32 v1, v70, v1, vcc
	v_fmac_f32_e32 v57, v5, v37
	v_lshlrev_b32_e32 v1, 2, v1
	ds_bpermute_b32 v35, v1, v57
	v_xor_b32_e32 v36, 8, v70
	v_cmp_lt_i32_e32 vcc, v36, v34
	v_cndmask_b32_e32 v36, v70, v36, vcc
	v_lshlrev_b32_e32 v62, 2, v36
	s_waitcnt lgkmcnt(0)
	v_add_f32_e32 v35, v57, v35
	ds_bpermute_b32 v36, v62, v35
	v_xor_b32_e32 v37, 4, v70
	v_cmp_lt_i32_e32 vcc, v37, v34
	v_cndmask_b32_e32 v37, v70, v37, vcc
	v_lshlrev_b32_e32 v63, 2, v37
	s_waitcnt lgkmcnt(0)
	v_add_f32_e32 v35, v35, v36
	ds_bpermute_b32 v36, v63, v35
	global_load_dwordx4 v[58:61], v[66:67], off
	global_load_dwordx4 v[54:57], v[66:67], off offset:2048
	v_xor_b32_e32 v66, 2, v70
	v_xor_b32_e32 v67, 1, v70
	v_cmp_lt_i32_e32 vcc, v66, v34
	s_waitcnt lgkmcnt(0)
	v_add_f32_e32 v71, v35, v36
	v_cmp_lt_i32_e64 s[0:1], v67, v34
	global_load_dwordx4 v[50:53], v[64:65], off offset:-4096
	global_load_dwordx4 v[46:49], v[64:65], off
	global_load_dwordx4 v[38:41], v[68:69], off
	global_load_dwordx4 v[34:37], v[68:69], off offset:2048
	v_cndmask_b32_e32 v64, v70, v66, vcc
	v_lshlrev_b32_e32 v65, 2, v64
	ds_bpermute_b32 v64, v65, v71
	v_cndmask_b32_e64 v66, v70, v67, s[0:1]
	v_and_b32_e32 v67, 31, v0
	v_cmp_eq_u32_e32 vcc, 0, v67
	v_lshlrev_b32_e32 v66, 2, v66
	s_waitcnt lgkmcnt(0)
	v_add_f32_e32 v67, v71, v64
	ds_bpermute_b32 v68, v66, v67
	v_lshrrev_b32_e32 v64, 5, v0
	v_lshlrev_b32_e32 v64, 2, v64
	s_and_saveexec_b64 s[0:1], vcc
	s_cbranch_execz .LBB35_2
; %bb.1:
	s_waitcnt lgkmcnt(0)
	v_add_f32_e32 v67, v67, v68
	ds_write_b32 v64, v67
.LBB35_2:
	s_or_b64 exec, exec, s[0:1]
	s_waitcnt vmcnt(8)
	v_lshlrev_b32_e32 v67, 16, v42
	v_and_b32_e32 v42, 0xffff0000, v42
	v_fma_f32 v67, v22, v67, 0
	s_waitcnt lgkmcnt(0)
	v_lshlrev_b32_e32 v68, 16, v43
	v_fmac_f32_e32 v67, v23, v42
	v_and_b32_e32 v43, 0xffff0000, v43
	v_fmac_f32_e32 v67, v24, v68
	v_lshlrev_b32_e32 v69, 16, v44
	v_fmac_f32_e32 v67, v25, v43
	v_and_b32_e32 v44, 0xffff0000, v44
	v_fmac_f32_e32 v67, v14, v69
	;; [unrolled: 4-line block ×3, first 2 shown]
	v_fmac_f32_e32 v67, v17, v45
	s_waitcnt vmcnt(5)
	v_lshlrev_b32_e32 v42, 16, v58
	v_and_b32_e32 v43, 0xffff0000, v58
	v_fmac_f32_e32 v67, v18, v42
	v_lshlrev_b32_e32 v44, 16, v59
	v_fmac_f32_e32 v67, v19, v43
	v_and_b32_e32 v45, 0xffff0000, v59
	v_fmac_f32_e32 v67, v20, v44
	v_lshlrev_b32_e32 v58, 16, v60
	v_fmac_f32_e32 v67, v21, v45
	;; [unrolled: 4-line block ×3, first 2 shown]
	v_and_b32_e32 v61, 0xffff0000, v61
	v_fmac_f32_e32 v67, v12, v60
	v_fmac_f32_e32 v67, v13, v61
	s_waitcnt vmcnt(4)
	v_lshlrev_b32_e32 v42, 16, v54
	v_and_b32_e32 v43, 0xffff0000, v54
	v_fmac_f32_e32 v67, v6, v42
	v_lshlrev_b32_e32 v44, 16, v55
	v_fmac_f32_e32 v67, v7, v43
	v_and_b32_e32 v45, 0xffff0000, v55
	v_fmac_f32_e32 v67, v8, v44
	v_lshlrev_b32_e32 v54, 16, v56
	v_fmac_f32_e32 v67, v9, v45
	;; [unrolled: 4-line block ×3, first 2 shown]
	v_and_b32_e32 v57, 0xffff0000, v57
	v_fmac_f32_e32 v67, v4, v56
	v_fmac_f32_e32 v67, v5, v57
	ds_bpermute_b32 v42, v1, v67
	s_waitcnt lgkmcnt(0)
	v_add_f32_e32 v42, v67, v42
	ds_bpermute_b32 v43, v62, v42
	s_waitcnt lgkmcnt(0)
	v_add_f32_e32 v42, v42, v43
	;; [unrolled: 3-line block ×4, first 2 shown]
	ds_bpermute_b32 v43, v66, v42
	s_and_saveexec_b64 s[0:1], vcc
	s_cbranch_execz .LBB35_4
; %bb.3:
	s_waitcnt lgkmcnt(0)
	v_add_f32_e32 v42, v42, v43
	ds_write_b32 v64, v42 offset:16
.LBB35_4:
	s_or_b64 exec, exec, s[0:1]
	s_waitcnt vmcnt(3)
	v_lshlrev_b32_e32 v42, 16, v50
	s_waitcnt lgkmcnt(0)
	v_and_b32_e32 v43, 0xffff0000, v50
	v_fma_f32 v42, v22, v42, 0
	v_lshlrev_b32_e32 v44, 16, v51
	v_fmac_f32_e32 v42, v23, v43
	v_and_b32_e32 v45, 0xffff0000, v51
	v_fmac_f32_e32 v42, v24, v44
	v_lshlrev_b32_e32 v50, 16, v52
	v_fmac_f32_e32 v42, v25, v45
	v_and_b32_e32 v51, 0xffff0000, v52
	v_fmac_f32_e32 v42, v14, v50
	;; [unrolled: 4-line block ×3, first 2 shown]
	v_fmac_f32_e32 v42, v17, v53
	v_lshlrev_b32_e32 v43, 16, v30
	v_and_b32_e32 v30, 0xffff0000, v30
	v_fmac_f32_e32 v42, v18, v43
	v_lshlrev_b32_e32 v44, 16, v31
	v_fmac_f32_e32 v42, v19, v30
	v_and_b32_e32 v31, 0xffff0000, v31
	v_fmac_f32_e32 v42, v20, v44
	v_lshlrev_b32_e32 v45, 16, v32
	v_fmac_f32_e32 v42, v21, v31
	;; [unrolled: 4-line block ×3, first 2 shown]
	v_and_b32_e32 v33, 0xffff0000, v33
	v_fmac_f32_e32 v42, v12, v50
	v_fmac_f32_e32 v42, v13, v33
	s_waitcnt vmcnt(2)
	v_lshlrev_b32_e32 v30, 16, v46
	v_and_b32_e32 v31, 0xffff0000, v46
	v_fmac_f32_e32 v42, v6, v30
	v_lshlrev_b32_e32 v32, 16, v47
	v_fmac_f32_e32 v42, v7, v31
	v_and_b32_e32 v33, 0xffff0000, v47
	v_fmac_f32_e32 v42, v8, v32
	v_lshlrev_b32_e32 v43, 16, v48
	v_fmac_f32_e32 v42, v9, v33
	;; [unrolled: 4-line block ×3, first 2 shown]
	v_and_b32_e32 v46, 0xffff0000, v49
	v_fmac_f32_e32 v42, v4, v45
	v_fmac_f32_e32 v42, v5, v46
	ds_bpermute_b32 v30, v1, v42
	s_waitcnt lgkmcnt(0)
	v_add_f32_e32 v30, v42, v30
	ds_bpermute_b32 v31, v62, v30
	s_waitcnt lgkmcnt(0)
	v_add_f32_e32 v30, v30, v31
	;; [unrolled: 3-line block ×4, first 2 shown]
	ds_bpermute_b32 v31, v66, v30
	s_and_saveexec_b64 s[0:1], vcc
	s_cbranch_execz .LBB35_6
; %bb.5:
	s_waitcnt lgkmcnt(0)
	v_add_f32_e32 v30, v30, v31
	ds_write_b32 v64, v30 offset:32
.LBB35_6:
	s_or_b64 exec, exec, s[0:1]
	v_lshlrev_b32_e32 v30, 16, v26
	v_and_b32_e32 v26, 0xffff0000, v26
	v_fma_f32 v22, v22, v30, 0
	s_waitcnt lgkmcnt(0)
	v_lshlrev_b32_e32 v31, 16, v27
	v_fmac_f32_e32 v22, v23, v26
	v_and_b32_e32 v27, 0xffff0000, v27
	v_fmac_f32_e32 v22, v24, v31
	v_lshlrev_b32_e32 v32, 16, v28
	v_fmac_f32_e32 v22, v25, v27
	v_and_b32_e32 v28, 0xffff0000, v28
	v_fmac_f32_e32 v22, v14, v32
	;; [unrolled: 4-line block ×3, first 2 shown]
	v_fmac_f32_e32 v22, v17, v29
	s_waitcnt vmcnt(1)
	v_lshlrev_b32_e32 v14, 16, v38
	v_and_b32_e32 v15, 0xffff0000, v38
	v_fmac_f32_e32 v22, v18, v14
	v_lshlrev_b32_e32 v16, 16, v39
	v_fmac_f32_e32 v22, v19, v15
	v_and_b32_e32 v17, 0xffff0000, v39
	v_fmac_f32_e32 v22, v20, v16
	v_lshlrev_b32_e32 v23, 16, v40
	v_fmac_f32_e32 v22, v21, v17
	;; [unrolled: 4-line block ×3, first 2 shown]
	v_and_b32_e32 v26, 0xffff0000, v41
	v_fmac_f32_e32 v22, v12, v25
	v_fmac_f32_e32 v22, v13, v26
	s_waitcnt vmcnt(0)
	v_lshlrev_b32_e32 v10, 16, v34
	v_and_b32_e32 v11, 0xffff0000, v34
	v_fmac_f32_e32 v22, v6, v10
	v_lshlrev_b32_e32 v12, 16, v35
	v_fmac_f32_e32 v22, v7, v11
	v_and_b32_e32 v13, 0xffff0000, v35
	v_fmac_f32_e32 v22, v8, v12
	v_lshlrev_b32_e32 v14, 16, v36
	v_fmac_f32_e32 v22, v9, v13
	;; [unrolled: 4-line block ×3, first 2 shown]
	v_and_b32_e32 v17, 0xffff0000, v37
	v_fmac_f32_e32 v22, v4, v16
	v_fmac_f32_e32 v22, v5, v17
	ds_bpermute_b32 v1, v1, v22
	s_waitcnt lgkmcnt(0)
	v_add_f32_e32 v1, v22, v1
	ds_bpermute_b32 v2, v62, v1
	s_waitcnt lgkmcnt(0)
	v_add_f32_e32 v1, v1, v2
	;; [unrolled: 3-line block ×4, first 2 shown]
	ds_bpermute_b32 v2, v66, v1
	s_and_saveexec_b64 s[0:1], vcc
	s_cbranch_execz .LBB35_8
; %bb.7:
	s_waitcnt lgkmcnt(0)
	v_add_f32_e32 v1, v1, v2
	ds_write_b32 v64, v1 offset:48
.LBB35_8:
	s_or_b64 exec, exec, s[0:1]
	v_cmp_eq_u32_e32 vcc, 0, v0
	s_waitcnt lgkmcnt(0)
	s_barrier
	s_and_saveexec_b64 s[0:1], vcc
	s_cbranch_execz .LBB35_10
; %bb.9:
	v_mov_b32_e32 v16, 0
	ds_read_b128 v[0:3], v16
	s_ashr_i32 s7, s6, 31
	ds_read_b128 v[4:7], v16 offset:16
	ds_read_b128 v[8:11], v16 offset:32
	;; [unrolled: 1-line block ×3, first 2 shown]
	s_lshl_b64 s[0:1], s[6:7], 2
	s_add_u32 s0, s8, s0
	s_waitcnt lgkmcnt(3)
	v_add_f32_e32 v0, 0, v0
	v_add_f32_e32 v0, v0, v1
	;; [unrolled: 1-line block ×4, first 2 shown]
	s_addc_u32 s1, s9, s1
	global_store_dword v16, v0, s[0:1]
	s_waitcnt lgkmcnt(2)
	v_add_f32_e32 v0, 0, v4
	v_add_f32_e32 v0, v0, v5
	v_add_f32_e32 v0, v0, v6
	v_add_f32_e32 v0, v0, v7
	global_store_dword v16, v0, s[0:1] offset:1024
	s_waitcnt lgkmcnt(1)
	v_add_f32_e32 v0, 0, v8
	v_add_f32_e32 v0, v0, v9
	v_add_f32_e32 v0, v0, v10
	v_add_f32_e32 v0, v0, v11
	global_store_dword v16, v0, s[0:1] offset:2048
	;; [unrolled: 6-line block ×3, first 2 shown]
.LBB35_10:
	s_endpgm
	.section	.rodata,"a",@progbits
	.p2align	6, 0x0
	.amdhsa_kernel _Z23fp32_router_gemm_kernelI14__hip_bfloat16Li128ELi4ELi256ELi3072EEvPfPKT_PKf
		.amdhsa_group_segment_fixed_size 64
		.amdhsa_private_segment_fixed_size 0
		.amdhsa_kernarg_size 24
		.amdhsa_user_sgpr_count 6
		.amdhsa_user_sgpr_private_segment_buffer 1
		.amdhsa_user_sgpr_dispatch_ptr 0
		.amdhsa_user_sgpr_queue_ptr 0
		.amdhsa_user_sgpr_kernarg_segment_ptr 1
		.amdhsa_user_sgpr_dispatch_id 0
		.amdhsa_user_sgpr_flat_scratch_init 0
		.amdhsa_user_sgpr_kernarg_preload_length 0
		.amdhsa_user_sgpr_kernarg_preload_offset 0
		.amdhsa_user_sgpr_private_segment_size 0
		.amdhsa_uses_dynamic_stack 0
		.amdhsa_system_sgpr_private_segment_wavefront_offset 0
		.amdhsa_system_sgpr_workgroup_id_x 1
		.amdhsa_system_sgpr_workgroup_id_y 0
		.amdhsa_system_sgpr_workgroup_id_z 0
		.amdhsa_system_sgpr_workgroup_info 0
		.amdhsa_system_vgpr_workitem_id 0
		.amdhsa_next_free_vgpr 72
		.amdhsa_next_free_sgpr 12
		.amdhsa_accum_offset 72
		.amdhsa_reserve_vcc 1
		.amdhsa_reserve_flat_scratch 0
		.amdhsa_float_round_mode_32 0
		.amdhsa_float_round_mode_16_64 0
		.amdhsa_float_denorm_mode_32 3
		.amdhsa_float_denorm_mode_16_64 3
		.amdhsa_dx10_clamp 1
		.amdhsa_ieee_mode 1
		.amdhsa_fp16_overflow 0
		.amdhsa_tg_split 0
		.amdhsa_exception_fp_ieee_invalid_op 0
		.amdhsa_exception_fp_denorm_src 0
		.amdhsa_exception_fp_ieee_div_zero 0
		.amdhsa_exception_fp_ieee_overflow 0
		.amdhsa_exception_fp_ieee_underflow 0
		.amdhsa_exception_fp_ieee_inexact 0
		.amdhsa_exception_int_div_zero 0
	.end_amdhsa_kernel
	.section	.text._Z23fp32_router_gemm_kernelI14__hip_bfloat16Li128ELi4ELi256ELi3072EEvPfPKT_PKf,"axG",@progbits,_Z23fp32_router_gemm_kernelI14__hip_bfloat16Li128ELi4ELi256ELi3072EEvPfPKT_PKf,comdat
.Lfunc_end35:
	.size	_Z23fp32_router_gemm_kernelI14__hip_bfloat16Li128ELi4ELi256ELi3072EEvPfPKT_PKf, .Lfunc_end35-_Z23fp32_router_gemm_kernelI14__hip_bfloat16Li128ELi4ELi256ELi3072EEvPfPKT_PKf
                                        ; -- End function
	.section	.AMDGPU.csdata,"",@progbits
; Kernel info:
; codeLenInByte = 2052
; NumSgprs: 16
; NumVgprs: 72
; NumAgprs: 0
; TotalNumVgprs: 72
; ScratchSize: 0
; MemoryBound: 0
; FloatMode: 240
; IeeeMode: 1
; LDSByteSize: 64 bytes/workgroup (compile time only)
; SGPRBlocks: 1
; VGPRBlocks: 8
; NumSGPRsForWavesPerEU: 16
; NumVGPRsForWavesPerEU: 72
; AccumOffset: 72
; Occupancy: 7
; WaveLimiterHint : 1
; COMPUTE_PGM_RSRC2:SCRATCH_EN: 0
; COMPUTE_PGM_RSRC2:USER_SGPR: 6
; COMPUTE_PGM_RSRC2:TRAP_HANDLER: 0
; COMPUTE_PGM_RSRC2:TGID_X_EN: 1
; COMPUTE_PGM_RSRC2:TGID_Y_EN: 0
; COMPUTE_PGM_RSRC2:TGID_Z_EN: 0
; COMPUTE_PGM_RSRC2:TIDIG_COMP_CNT: 0
; COMPUTE_PGM_RSRC3_GFX90A:ACCUM_OFFSET: 17
; COMPUTE_PGM_RSRC3_GFX90A:TG_SPLIT: 0
	.section	.text._Z23fp32_router_gemm_kernelI14__hip_bfloat16Li128ELi5ELi256ELi3072EEvPfPKT_PKf,"axG",@progbits,_Z23fp32_router_gemm_kernelI14__hip_bfloat16Li128ELi5ELi256ELi3072EEvPfPKT_PKf,comdat
	.protected	_Z23fp32_router_gemm_kernelI14__hip_bfloat16Li128ELi5ELi256ELi3072EEvPfPKT_PKf ; -- Begin function _Z23fp32_router_gemm_kernelI14__hip_bfloat16Li128ELi5ELi256ELi3072EEvPfPKT_PKf
	.globl	_Z23fp32_router_gemm_kernelI14__hip_bfloat16Li128ELi5ELi256ELi3072EEvPfPKT_PKf
	.p2align	8
	.type	_Z23fp32_router_gemm_kernelI14__hip_bfloat16Li128ELi5ELi256ELi3072EEvPfPKT_PKf,@function
_Z23fp32_router_gemm_kernelI14__hip_bfloat16Li128ELi5ELi256ELi3072EEvPfPKT_PKf: ; @_Z23fp32_router_gemm_kernelI14__hip_bfloat16Li128ELi5ELi256ELi3072EEvPfPKT_PKf
; %bb.0:
	s_load_dwordx4 s[0:3], s[4:5], 0x0
	s_mul_i32 s8, s6, 0xc00
	s_load_dwordx2 s[4:5], s[4:5], 0x10
	s_ashr_i32 s9, s8, 31
	s_lshl_b64 s[8:9], s[8:9], 2
	v_lshlrev_b32_e32 v1, 4, v0
	s_waitcnt lgkmcnt(0)
	global_load_dwordx4 v[26:29], v1, s[2:3]
	global_load_dwordx4 v[30:33], v1, s[2:3] offset:2048
	s_add_u32 s4, s4, s8
	v_lshlrev_b32_e32 v10, 5, v0
	s_addc_u32 s5, s5, s9
	global_load_dwordx4 v[6:9], v10, s[4:5]
	global_load_dwordx4 v[2:5], v10, s[4:5] offset:16
	v_mov_b32_e32 v11, s3
	v_add_co_u32_e32 v1, vcc, s2, v1
	s_movk_i32 s7, 0x1000
	v_addc_co_u32_e32 v36, vcc, 0, v11, vcc
	v_add_co_u32_e32 v34, vcc, s7, v1
	v_addc_co_u32_e32 v35, vcc, 0, v36, vcc
	v_mov_b32_e32 v11, s5
	v_add_co_u32_e32 v10, vcc, s4, v10
	s_movk_i32 s8, 0x2000
	v_addc_co_u32_e32 v11, vcc, 0, v11, vcc
	v_add_co_u32_e32 v18, vcc, s8, v10
	v_addc_co_u32_e32 v19, vcc, 0, v11, vcc
	global_load_dwordx4 v[14:17], v[18:19], off offset:-4096
	v_add_co_u32_e32 v20, vcc, s7, v10
	v_addc_co_u32_e32 v21, vcc, 0, v11, vcc
	global_load_dwordx4 v[10:13], v[20:21], off offset:16
	global_load_dwordx4 v[74:77], v[34:35], off
	global_load_dwordx4 v[22:25], v[18:19], off
	s_movk_i32 s9, 0x3000
	global_load_dwordx4 v[18:21], v[18:19], off offset:16
	v_add_co_u32_e32 v78, vcc, s9, v1
	s_movk_i32 s10, 0x4000
	v_addc_co_u32_e32 v79, vcc, 0, v36, vcc
	v_add_co_u32_e32 v80, vcc, s10, v1
	s_movk_i32 s11, 0x6000
	v_addc_co_u32_e32 v81, vcc, 0, v36, vcc
	;; [unrolled: 3-line block ×3, first 2 shown]
	v_add_co_u32_e32 v84, vcc, s12, v1
	v_addc_co_u32_e32 v85, vcc, 0, v36, vcc
	v_add_co_u32_e32 v86, vcc, s8, v1
	s_movk_i32 s13, 0x5000
	v_addc_co_u32_e32 v87, vcc, 0, v36, vcc
	global_load_dwordx4 v[58:61], v[34:35], off offset:2048
	v_add_co_u32_e32 v88, vcc, s13, v1
	v_addc_co_u32_e32 v89, vcc, 0, v36, vcc
	s_waitcnt vmcnt(9)
	v_lshlrev_b32_e32 v34, 16, v26
	v_and_b32_e32 v26, 0xffff0000, v26
	v_lshlrev_b32_e32 v90, 16, v27
	v_and_b32_e32 v91, 0xffff0000, v27
	s_waitcnt vmcnt(7)
	v_fma_f32 v104, v6, v34, 0
	v_lshlrev_b32_e32 v92, 16, v28
	v_and_b32_e32 v93, 0xffff0000, v28
	v_lshlrev_b32_e32 v94, 16, v29
	v_and_b32_e32 v95, 0xffff0000, v29
	;; [unrolled: 2-line block ×6, first 2 shown]
	v_fmac_f32_e32 v104, v7, v26
	global_load_dwordx4 v[46:49], v[78:79], off offset:2048
	global_load_dwordx4 v[26:29], v[82:83], off offset:2048
	global_load_dwordx4 v[70:73], v[86:87], off
	global_load_dwordx4 v[62:65], v[86:87], off offset:2048
	global_load_dwordx4 v[42:45], v[88:89], off
	global_load_dwordx4 v[38:41], v[88:89], off offset:2048
	global_load_dwordx4 v[66:69], v[80:81], off offset:-4096
	global_load_dwordx4 v[54:57], v[80:81], off
	global_load_dwordx4 v[50:53], v[80:81], off offset:2048
	global_load_dwordx4 v[34:37], v[84:85], off offset:-4096
	global_load_dwordx4 v[30:33], v[84:85], off
	v_fmac_f32_e32 v104, v8, v90
	v_fmac_f32_e32 v104, v9, v91
	s_waitcnt vmcnt(17)
	v_fmac_f32_e32 v104, v2, v92
	v_fmac_f32_e32 v104, v3, v93
	v_fmac_f32_e32 v104, v4, v94
	v_fmac_f32_e32 v104, v5, v95
	s_waitcnt vmcnt(16)
	v_fmac_f32_e32 v104, v14, v96
	v_fmac_f32_e32 v104, v15, v97
	;; [unrolled: 5-line block ×3, first 2 shown]
	v_fmac_f32_e32 v104, v12, v102
	v_fmac_f32_e32 v104, v13, v103
	s_waitcnt vmcnt(14)
	v_lshlrev_b32_e32 v1, 16, v74
	v_and_b32_e32 v74, 0xffff0000, v74
	s_waitcnt vmcnt(13)
	v_fmac_f32_e32 v104, v22, v1
	v_lshlrev_b32_e32 v78, 16, v75
	v_fmac_f32_e32 v104, v23, v74
	v_and_b32_e32 v75, 0xffff0000, v75
	v_fmac_f32_e32 v104, v24, v78
	v_lshlrev_b32_e32 v79, 16, v76
	v_fmac_f32_e32 v104, v25, v75
	v_and_b32_e32 v76, 0xffff0000, v76
	s_waitcnt vmcnt(12)
	v_fmac_f32_e32 v104, v18, v79
	v_lshlrev_b32_e32 v80, 16, v77
	v_fmac_f32_e32 v104, v19, v76
	v_and_b32_e32 v77, 0xffff0000, v77
	v_fmac_f32_e32 v104, v20, v80
	v_mbcnt_lo_u32_b32 v1, -1, 0
	v_fmac_f32_e32 v104, v21, v77
	v_mbcnt_hi_u32_b32 v77, -1, v1
	v_and_b32_e32 v74, 64, v77
	v_xor_b32_e32 v1, 16, v77
	v_add_u32_e32 v78, 64, v74
	v_cmp_lt_i32_e32 vcc, v1, v78
	v_cndmask_b32_e32 v1, v77, v1, vcc
	v_lshlrev_b32_e32 v1, 2, v1
	ds_bpermute_b32 v75, v1, v104
	v_xor_b32_e32 v74, 8, v77
	v_cmp_lt_i32_e32 vcc, v74, v78
	v_cndmask_b32_e32 v74, v77, v74, vcc
	v_lshlrev_b32_e32 v74, 2, v74
	s_waitcnt lgkmcnt(0)
	v_add_f32_e32 v76, v104, v75
	ds_bpermute_b32 v79, v74, v76
	v_xor_b32_e32 v75, 4, v77
	v_cmp_lt_i32_e32 vcc, v75, v78
	v_cndmask_b32_e32 v75, v77, v75, vcc
	v_lshlrev_b32_e32 v75, 2, v75
	s_waitcnt lgkmcnt(0)
	v_add_f32_e32 v79, v76, v79
	;; [unrolled: 7-line block ×4, first 2 shown]
	ds_bpermute_b32 v80, v78, v79
	v_lshrrev_b32_e32 v77, 5, v0
	v_and_b32_e32 v81, 31, v0
	v_cmp_eq_u32_e32 vcc, 0, v81
	v_lshlrev_b32_e32 v77, 2, v77
	s_and_saveexec_b64 s[2:3], vcc
	s_cbranch_execz .LBB36_2
; %bb.1:
	s_waitcnt lgkmcnt(0)
	v_add_f32_e32 v79, v79, v80
	ds_write_b32 v77, v79
.LBB36_2:
	s_or_b64 exec, exec, s[2:3]
	s_waitcnt vmcnt(11)
	v_lshlrev_b32_e32 v79, 16, v58
	v_and_b32_e32 v58, 0xffff0000, v58
	v_fma_f32 v79, v6, v79, 0
	s_waitcnt lgkmcnt(0)
	v_lshlrev_b32_e32 v80, 16, v59
	v_fmac_f32_e32 v79, v7, v58
	v_and_b32_e32 v59, 0xffff0000, v59
	v_fmac_f32_e32 v79, v8, v80
	v_lshlrev_b32_e32 v81, 16, v60
	v_fmac_f32_e32 v79, v9, v59
	v_and_b32_e32 v60, 0xffff0000, v60
	v_fmac_f32_e32 v79, v2, v81
	;; [unrolled: 4-line block ×3, first 2 shown]
	v_fmac_f32_e32 v79, v5, v61
	s_waitcnt vmcnt(8)
	v_lshlrev_b32_e32 v58, 16, v70
	v_and_b32_e32 v59, 0xffff0000, v70
	v_fmac_f32_e32 v79, v14, v58
	v_lshlrev_b32_e32 v60, 16, v71
	v_fmac_f32_e32 v79, v15, v59
	v_and_b32_e32 v61, 0xffff0000, v71
	v_fmac_f32_e32 v79, v16, v60
	v_lshlrev_b32_e32 v70, 16, v72
	v_fmac_f32_e32 v79, v17, v61
	;; [unrolled: 4-line block ×3, first 2 shown]
	v_and_b32_e32 v73, 0xffff0000, v73
	v_fmac_f32_e32 v79, v12, v72
	v_fmac_f32_e32 v79, v13, v73
	s_waitcnt vmcnt(7)
	v_lshlrev_b32_e32 v58, 16, v62
	v_and_b32_e32 v59, 0xffff0000, v62
	v_fmac_f32_e32 v79, v22, v58
	v_lshlrev_b32_e32 v60, 16, v63
	v_fmac_f32_e32 v79, v23, v59
	v_and_b32_e32 v61, 0xffff0000, v63
	v_fmac_f32_e32 v79, v24, v60
	v_lshlrev_b32_e32 v62, 16, v64
	v_fmac_f32_e32 v79, v25, v61
	;; [unrolled: 4-line block ×3, first 2 shown]
	v_and_b32_e32 v65, 0xffff0000, v65
	v_fmac_f32_e32 v79, v20, v64
	v_fmac_f32_e32 v79, v21, v65
	ds_bpermute_b32 v58, v1, v79
	s_waitcnt lgkmcnt(0)
	v_add_f32_e32 v58, v79, v58
	ds_bpermute_b32 v59, v74, v58
	s_waitcnt lgkmcnt(0)
	v_add_f32_e32 v58, v58, v59
	;; [unrolled: 3-line block ×4, first 2 shown]
	ds_bpermute_b32 v59, v78, v58
	s_and_saveexec_b64 s[2:3], vcc
	s_cbranch_execz .LBB36_4
; %bb.3:
	s_waitcnt lgkmcnt(0)
	v_add_f32_e32 v58, v58, v59
	ds_write_b32 v77, v58 offset:16
.LBB36_4:
	s_or_b64 exec, exec, s[2:3]
	s_waitcnt vmcnt(4)
	v_lshlrev_b32_e32 v58, 16, v66
	s_waitcnt lgkmcnt(0)
	v_and_b32_e32 v59, 0xffff0000, v66
	v_fma_f32 v58, v6, v58, 0
	v_lshlrev_b32_e32 v60, 16, v67
	v_fmac_f32_e32 v58, v7, v59
	v_and_b32_e32 v61, 0xffff0000, v67
	v_fmac_f32_e32 v58, v8, v60
	v_lshlrev_b32_e32 v62, 16, v68
	v_fmac_f32_e32 v58, v9, v61
	v_and_b32_e32 v63, 0xffff0000, v68
	v_fmac_f32_e32 v58, v2, v62
	;; [unrolled: 4-line block ×3, first 2 shown]
	v_fmac_f32_e32 v58, v5, v65
	v_lshlrev_b32_e32 v59, 16, v46
	v_and_b32_e32 v46, 0xffff0000, v46
	v_fmac_f32_e32 v58, v14, v59
	v_lshlrev_b32_e32 v60, 16, v47
	v_fmac_f32_e32 v58, v15, v46
	v_and_b32_e32 v47, 0xffff0000, v47
	v_fmac_f32_e32 v58, v16, v60
	v_lshlrev_b32_e32 v61, 16, v48
	v_fmac_f32_e32 v58, v17, v47
	;; [unrolled: 4-line block ×3, first 2 shown]
	v_and_b32_e32 v49, 0xffff0000, v49
	v_fmac_f32_e32 v58, v12, v62
	v_fmac_f32_e32 v58, v13, v49
	s_waitcnt vmcnt(3)
	v_lshlrev_b32_e32 v46, 16, v54
	v_and_b32_e32 v47, 0xffff0000, v54
	v_fmac_f32_e32 v58, v22, v46
	v_lshlrev_b32_e32 v48, 16, v55
	v_fmac_f32_e32 v58, v23, v47
	v_and_b32_e32 v49, 0xffff0000, v55
	v_fmac_f32_e32 v58, v24, v48
	v_lshlrev_b32_e32 v54, 16, v56
	v_fmac_f32_e32 v58, v25, v49
	;; [unrolled: 4-line block ×3, first 2 shown]
	v_and_b32_e32 v57, 0xffff0000, v57
	v_fmac_f32_e32 v58, v20, v56
	v_fmac_f32_e32 v58, v21, v57
	ds_bpermute_b32 v46, v1, v58
	s_waitcnt lgkmcnt(0)
	v_add_f32_e32 v46, v58, v46
	ds_bpermute_b32 v47, v74, v46
	s_waitcnt lgkmcnt(0)
	v_add_f32_e32 v46, v46, v47
	;; [unrolled: 3-line block ×4, first 2 shown]
	ds_bpermute_b32 v47, v78, v46
	s_and_saveexec_b64 s[2:3], vcc
	s_cbranch_execz .LBB36_6
; %bb.5:
	s_waitcnt lgkmcnt(0)
	v_add_f32_e32 v46, v46, v47
	ds_write_b32 v77, v46 offset:32
.LBB36_6:
	s_or_b64 exec, exec, s[2:3]
	s_waitcnt vmcnt(2)
	v_lshlrev_b32_e32 v46, 16, v50
	s_waitcnt lgkmcnt(0)
	v_and_b32_e32 v47, 0xffff0000, v50
	v_fma_f32 v46, v6, v46, 0
	v_lshlrev_b32_e32 v48, 16, v51
	v_fmac_f32_e32 v46, v7, v47
	v_and_b32_e32 v49, 0xffff0000, v51
	v_fmac_f32_e32 v46, v8, v48
	v_lshlrev_b32_e32 v50, 16, v52
	v_fmac_f32_e32 v46, v9, v49
	v_and_b32_e32 v51, 0xffff0000, v52
	v_fmac_f32_e32 v46, v2, v50
	;; [unrolled: 4-line block ×3, first 2 shown]
	v_fmac_f32_e32 v46, v5, v53
	v_lshlrev_b32_e32 v47, 16, v42
	v_and_b32_e32 v42, 0xffff0000, v42
	v_fmac_f32_e32 v46, v14, v47
	v_lshlrev_b32_e32 v48, 16, v43
	v_fmac_f32_e32 v46, v15, v42
	v_and_b32_e32 v43, 0xffff0000, v43
	v_fmac_f32_e32 v46, v16, v48
	v_lshlrev_b32_e32 v49, 16, v44
	v_fmac_f32_e32 v46, v17, v43
	;; [unrolled: 4-line block ×3, first 2 shown]
	v_and_b32_e32 v45, 0xffff0000, v45
	v_fmac_f32_e32 v46, v12, v50
	v_fmac_f32_e32 v46, v13, v45
	v_lshlrev_b32_e32 v42, 16, v38
	v_and_b32_e32 v38, 0xffff0000, v38
	v_fmac_f32_e32 v46, v22, v42
	v_lshlrev_b32_e32 v43, 16, v39
	v_fmac_f32_e32 v46, v23, v38
	v_and_b32_e32 v39, 0xffff0000, v39
	v_fmac_f32_e32 v46, v24, v43
	v_lshlrev_b32_e32 v44, 16, v40
	v_fmac_f32_e32 v46, v25, v39
	;; [unrolled: 4-line block ×3, first 2 shown]
	v_and_b32_e32 v41, 0xffff0000, v41
	v_fmac_f32_e32 v46, v20, v45
	v_fmac_f32_e32 v46, v21, v41
	ds_bpermute_b32 v38, v1, v46
	s_waitcnt lgkmcnt(0)
	v_add_f32_e32 v38, v46, v38
	ds_bpermute_b32 v39, v74, v38
	s_waitcnt lgkmcnt(0)
	v_add_f32_e32 v38, v38, v39
	;; [unrolled: 3-line block ×4, first 2 shown]
	ds_bpermute_b32 v39, v78, v38
	s_and_saveexec_b64 s[2:3], vcc
	s_cbranch_execz .LBB36_8
; %bb.7:
	s_waitcnt lgkmcnt(0)
	v_add_f32_e32 v38, v38, v39
	ds_write_b32 v77, v38 offset:48
.LBB36_8:
	s_or_b64 exec, exec, s[2:3]
	s_waitcnt vmcnt(1)
	v_lshlrev_b32_e32 v38, 16, v34
	v_and_b32_e32 v34, 0xffff0000, v34
	v_fma_f32 v6, v6, v38, 0
	s_waitcnt lgkmcnt(0)
	v_lshlrev_b32_e32 v39, 16, v35
	v_fmac_f32_e32 v6, v7, v34
	v_and_b32_e32 v35, 0xffff0000, v35
	v_fmac_f32_e32 v6, v8, v39
	v_lshlrev_b32_e32 v40, 16, v36
	v_fmac_f32_e32 v6, v9, v35
	v_and_b32_e32 v36, 0xffff0000, v36
	v_fmac_f32_e32 v6, v2, v40
	;; [unrolled: 4-line block ×3, first 2 shown]
	v_fmac_f32_e32 v6, v5, v37
	v_lshlrev_b32_e32 v2, 16, v26
	v_and_b32_e32 v3, 0xffff0000, v26
	v_fmac_f32_e32 v6, v14, v2
	v_lshlrev_b32_e32 v4, 16, v27
	v_fmac_f32_e32 v6, v15, v3
	v_and_b32_e32 v5, 0xffff0000, v27
	v_fmac_f32_e32 v6, v16, v4
	v_lshlrev_b32_e32 v7, 16, v28
	v_fmac_f32_e32 v6, v17, v5
	;; [unrolled: 4-line block ×3, first 2 shown]
	v_and_b32_e32 v26, 0xffff0000, v29
	v_fmac_f32_e32 v6, v12, v9
	v_fmac_f32_e32 v6, v13, v26
	s_waitcnt vmcnt(0)
	v_lshlrev_b32_e32 v2, 16, v30
	v_and_b32_e32 v3, 0xffff0000, v30
	v_fmac_f32_e32 v6, v22, v2
	v_lshlrev_b32_e32 v4, 16, v31
	v_fmac_f32_e32 v6, v23, v3
	v_and_b32_e32 v5, 0xffff0000, v31
	v_fmac_f32_e32 v6, v24, v4
	v_lshlrev_b32_e32 v7, 16, v32
	v_fmac_f32_e32 v6, v25, v5
	;; [unrolled: 4-line block ×3, first 2 shown]
	v_and_b32_e32 v10, 0xffff0000, v33
	v_fmac_f32_e32 v6, v20, v9
	v_fmac_f32_e32 v6, v21, v10
	ds_bpermute_b32 v1, v1, v6
	s_waitcnt lgkmcnt(0)
	v_add_f32_e32 v1, v6, v1
	ds_bpermute_b32 v2, v74, v1
	s_waitcnt lgkmcnt(0)
	v_add_f32_e32 v1, v1, v2
	;; [unrolled: 3-line block ×4, first 2 shown]
	ds_bpermute_b32 v2, v78, v1
	s_and_saveexec_b64 s[2:3], vcc
	s_cbranch_execz .LBB36_10
; %bb.9:
	s_waitcnt lgkmcnt(0)
	v_add_f32_e32 v1, v1, v2
	ds_write_b32 v77, v1 offset:64
.LBB36_10:
	s_or_b64 exec, exec, s[2:3]
	v_cmp_eq_u32_e32 vcc, 0, v0
	s_waitcnt lgkmcnt(0)
	s_barrier
	s_and_saveexec_b64 s[2:3], vcc
	s_cbranch_execz .LBB36_12
; %bb.11:
	v_mov_b32_e32 v16, 0
	ds_read_b128 v[0:3], v16
	s_ashr_i32 s7, s6, 31
	ds_read_b128 v[4:7], v16 offset:16
	ds_read_b128 v[8:11], v16 offset:32
	;; [unrolled: 1-line block ×3, first 2 shown]
	s_lshl_b64 s[2:3], s[6:7], 2
	s_add_u32 s0, s0, s2
	s_waitcnt lgkmcnt(3)
	v_add_f32_e32 v0, 0, v0
	v_add_f32_e32 v0, v0, v1
	;; [unrolled: 1-line block ×4, first 2 shown]
	s_addc_u32 s1, s1, s3
	global_store_dword v16, v0, s[0:1]
	s_waitcnt lgkmcnt(2)
	v_add_f32_e32 v0, 0, v4
	v_add_f32_e32 v0, v0, v5
	v_add_f32_e32 v0, v0, v6
	v_add_f32_e32 v0, v0, v7
	global_store_dword v16, v0, s[0:1] offset:1024
	s_waitcnt lgkmcnt(1)
	v_add_f32_e32 v0, 0, v8
	v_add_f32_e32 v0, v0, v9
	;; [unrolled: 1-line block ×4, first 2 shown]
	global_store_dword v16, v0, s[0:1] offset:2048
	ds_read_b128 v[0:3], v16 offset:64
	s_waitcnt lgkmcnt(1)
	v_add_f32_e32 v4, 0, v12
	v_add_f32_e32 v4, v4, v13
	;; [unrolled: 1-line block ×4, first 2 shown]
	s_waitcnt lgkmcnt(0)
	v_add_f32_e32 v0, 0, v0
	v_add_f32_e32 v0, v0, v1
	;; [unrolled: 1-line block ×4, first 2 shown]
	v_mov_b32_e32 v1, 0x1000
	global_store_dword v16, v4, s[0:1] offset:3072
	global_store_dword v1, v0, s[0:1]
.LBB36_12:
	s_endpgm
	.section	.rodata,"a",@progbits
	.p2align	6, 0x0
	.amdhsa_kernel _Z23fp32_router_gemm_kernelI14__hip_bfloat16Li128ELi5ELi256ELi3072EEvPfPKT_PKf
		.amdhsa_group_segment_fixed_size 80
		.amdhsa_private_segment_fixed_size 0
		.amdhsa_kernarg_size 24
		.amdhsa_user_sgpr_count 6
		.amdhsa_user_sgpr_private_segment_buffer 1
		.amdhsa_user_sgpr_dispatch_ptr 0
		.amdhsa_user_sgpr_queue_ptr 0
		.amdhsa_user_sgpr_kernarg_segment_ptr 1
		.amdhsa_user_sgpr_dispatch_id 0
		.amdhsa_user_sgpr_flat_scratch_init 0
		.amdhsa_user_sgpr_kernarg_preload_length 0
		.amdhsa_user_sgpr_kernarg_preload_offset 0
		.amdhsa_user_sgpr_private_segment_size 0
		.amdhsa_uses_dynamic_stack 0
		.amdhsa_system_sgpr_private_segment_wavefront_offset 0
		.amdhsa_system_sgpr_workgroup_id_x 1
		.amdhsa_system_sgpr_workgroup_id_y 0
		.amdhsa_system_sgpr_workgroup_id_z 0
		.amdhsa_system_sgpr_workgroup_info 0
		.amdhsa_system_vgpr_workitem_id 0
		.amdhsa_next_free_vgpr 105
		.amdhsa_next_free_sgpr 14
		.amdhsa_accum_offset 108
		.amdhsa_reserve_vcc 1
		.amdhsa_reserve_flat_scratch 0
		.amdhsa_float_round_mode_32 0
		.amdhsa_float_round_mode_16_64 0
		.amdhsa_float_denorm_mode_32 3
		.amdhsa_float_denorm_mode_16_64 3
		.amdhsa_dx10_clamp 1
		.amdhsa_ieee_mode 1
		.amdhsa_fp16_overflow 0
		.amdhsa_tg_split 0
		.amdhsa_exception_fp_ieee_invalid_op 0
		.amdhsa_exception_fp_denorm_src 0
		.amdhsa_exception_fp_ieee_div_zero 0
		.amdhsa_exception_fp_ieee_overflow 0
		.amdhsa_exception_fp_ieee_underflow 0
		.amdhsa_exception_fp_ieee_inexact 0
		.amdhsa_exception_int_div_zero 0
	.end_amdhsa_kernel
	.section	.text._Z23fp32_router_gemm_kernelI14__hip_bfloat16Li128ELi5ELi256ELi3072EEvPfPKT_PKf,"axG",@progbits,_Z23fp32_router_gemm_kernelI14__hip_bfloat16Li128ELi5ELi256ELi3072EEvPfPKT_PKf,comdat
.Lfunc_end36:
	.size	_Z23fp32_router_gemm_kernelI14__hip_bfloat16Li128ELi5ELi256ELi3072EEvPfPKT_PKf, .Lfunc_end36-_Z23fp32_router_gemm_kernelI14__hip_bfloat16Li128ELi5ELi256ELi3072EEvPfPKT_PKf
                                        ; -- End function
	.section	.AMDGPU.csdata,"",@progbits
; Kernel info:
; codeLenInByte = 2496
; NumSgprs: 18
; NumVgprs: 105
; NumAgprs: 0
; TotalNumVgprs: 105
; ScratchSize: 0
; MemoryBound: 0
; FloatMode: 240
; IeeeMode: 1
; LDSByteSize: 80 bytes/workgroup (compile time only)
; SGPRBlocks: 2
; VGPRBlocks: 13
; NumSGPRsForWavesPerEU: 18
; NumVGPRsForWavesPerEU: 105
; AccumOffset: 108
; Occupancy: 4
; WaveLimiterHint : 1
; COMPUTE_PGM_RSRC2:SCRATCH_EN: 0
; COMPUTE_PGM_RSRC2:USER_SGPR: 6
; COMPUTE_PGM_RSRC2:TRAP_HANDLER: 0
; COMPUTE_PGM_RSRC2:TGID_X_EN: 1
; COMPUTE_PGM_RSRC2:TGID_Y_EN: 0
; COMPUTE_PGM_RSRC2:TGID_Z_EN: 0
; COMPUTE_PGM_RSRC2:TIDIG_COMP_CNT: 0
; COMPUTE_PGM_RSRC3_GFX90A:ACCUM_OFFSET: 26
; COMPUTE_PGM_RSRC3_GFX90A:TG_SPLIT: 0
	.section	.text._Z23fp32_router_gemm_kernelI14__hip_bfloat16Li128ELi6ELi256ELi3072EEvPfPKT_PKf,"axG",@progbits,_Z23fp32_router_gemm_kernelI14__hip_bfloat16Li128ELi6ELi256ELi3072EEvPfPKT_PKf,comdat
	.protected	_Z23fp32_router_gemm_kernelI14__hip_bfloat16Li128ELi6ELi256ELi3072EEvPfPKT_PKf ; -- Begin function _Z23fp32_router_gemm_kernelI14__hip_bfloat16Li128ELi6ELi256ELi3072EEvPfPKT_PKf
	.globl	_Z23fp32_router_gemm_kernelI14__hip_bfloat16Li128ELi6ELi256ELi3072EEvPfPKT_PKf
	.p2align	8
	.type	_Z23fp32_router_gemm_kernelI14__hip_bfloat16Li128ELi6ELi256ELi3072EEvPfPKT_PKf,@function
_Z23fp32_router_gemm_kernelI14__hip_bfloat16Li128ELi6ELi256ELi3072EEvPfPKT_PKf: ; @_Z23fp32_router_gemm_kernelI14__hip_bfloat16Li128ELi6ELi256ELi3072EEvPfPKT_PKf
; %bb.0:
	s_load_dwordx4 s[8:11], s[4:5], 0x0
	s_load_dwordx2 s[0:1], s[4:5], 0x10
	s_mul_i32 s2, s6, 0xc00
	s_ashr_i32 s3, s2, 31
	s_lshl_b64 s[2:3], s[2:3], 2
	v_lshlrev_b32_e32 v1, 4, v0
	s_waitcnt lgkmcnt(0)
	s_add_u32 s0, s0, s2
	global_load_dwordx4 v[26:29], v1, s[10:11]
	global_load_dwordx4 v[30:33], v1, s[10:11] offset:2048
	v_lshlrev_b32_e32 v2, 5, v0
	s_addc_u32 s1, s1, s3
	global_load_dwordx4 v[10:13], v2, s[0:1] offset:16
	global_load_dwordx4 v[14:17], v2, s[0:1]
	v_mov_b32_e32 v3, s1
	v_add_co_u32_e32 v2, vcc, s0, v2
	s_movk_i32 s5, 0x2000
	v_addc_co_u32_e32 v3, vcc, 0, v3, vcc
	v_add_co_u32_e32 v38, vcc, s5, v2
	v_addc_co_u32_e32 v39, vcc, 0, v3, vcc
	global_load_dwordx4 v[6:9], v[38:39], off offset:-4096
	s_movk_i32 s4, 0x1000
	v_add_co_u32_e32 v2, vcc, s4, v2
	v_addc_co_u32_e32 v3, vcc, 0, v3, vcc
	global_load_dwordx4 v[2:5], v[2:3], off offset:16
	v_mov_b32_e32 v18, s11
	v_add_co_u32_e32 v44, vcc, s10, v1
	v_addc_co_u32_e32 v45, vcc, 0, v18, vcc
	v_add_co_u32_e32 v40, vcc, s4, v44
	v_addc_co_u32_e32 v41, vcc, 0, v45, vcc
	global_load_dwordx4 v[34:37], v[40:41], off
	global_load_dwordx4 v[22:25], v[38:39], off
	global_load_dwordx4 v[18:21], v[38:39], off offset:16
	global_load_dwordx4 v[70:73], v[40:41], off offset:2048
	s_movk_i32 s0, 0x3000
	v_add_co_u32_e32 v38, vcc, s0, v44
	s_movk_i32 s1, 0x4000
	v_addc_co_u32_e32 v39, vcc, 0, v45, vcc
	v_add_co_u32_e32 v88, vcc, s1, v44
	s_movk_i32 s2, 0x6000
	v_addc_co_u32_e32 v89, vcc, 0, v45, vcc
	;; [unrolled: 3-line block ×3, first 2 shown]
	v_add_co_u32_e32 v90, vcc, s3, v44
	v_addc_co_u32_e32 v91, vcc, 0, v45, vcc
	v_add_co_u32_e32 v92, vcc, s5, v44
	s_movk_i32 s4, 0x5000
	v_addc_co_u32_e32 v93, vcc, 0, v45, vcc
	v_add_co_u32_e32 v94, vcc, s4, v44
	v_addc_co_u32_e32 v95, vcc, 0, v45, vcc
	s_mov_b32 s0, 0x8000
	s_waitcnt vmcnt(9)
	v_lshlrev_b32_e32 v1, 16, v26
	v_and_b32_e32 v26, 0xffff0000, v26
	v_lshlrev_b32_e32 v40, 16, v27
	v_and_b32_e32 v27, 0xffff0000, v27
	s_waitcnt vmcnt(6)
	v_fma_f32 v51, v14, v1, 0
	v_fmac_f32_e32 v51, v15, v26
	v_fmac_f32_e32 v51, v16, v40
	v_lshlrev_b32_e32 v41, 16, v28
	v_fmac_f32_e32 v51, v17, v27
	v_and_b32_e32 v28, 0xffff0000, v28
	v_fmac_f32_e32 v51, v10, v41
	v_lshlrev_b32_e32 v46, 16, v29
	v_fmac_f32_e32 v51, v11, v28
	v_and_b32_e32 v29, 0xffff0000, v29
	;; [unrolled: 4-line block ×3, first 2 shown]
	s_waitcnt vmcnt(5)
	v_fmac_f32_e32 v51, v6, v47
	v_lshlrev_b32_e32 v48, 16, v31
	v_fmac_f32_e32 v51, v7, v30
	v_and_b32_e32 v31, 0xffff0000, v31
	v_fmac_f32_e32 v51, v8, v48
	v_lshlrev_b32_e32 v49, 16, v32
	v_fmac_f32_e32 v51, v9, v31
	v_and_b32_e32 v32, 0xffff0000, v32
	s_waitcnt vmcnt(4)
	v_fmac_f32_e32 v51, v2, v49
	v_lshlrev_b32_e32 v50, 16, v33
	v_fmac_f32_e32 v51, v3, v32
	v_and_b32_e32 v33, 0xffff0000, v33
	v_fmac_f32_e32 v51, v4, v50
	v_fmac_f32_e32 v51, v5, v33
	s_waitcnt vmcnt(3)
	v_lshlrev_b32_e32 v1, 16, v34
	v_and_b32_e32 v26, 0xffff0000, v34
	s_waitcnt vmcnt(2)
	v_fmac_f32_e32 v51, v22, v1
	v_lshlrev_b32_e32 v27, 16, v35
	v_fmac_f32_e32 v51, v23, v26
	v_mbcnt_lo_u32_b32 v1, -1, 0
	v_and_b32_e32 v28, 0xffff0000, v35
	v_fmac_f32_e32 v51, v24, v27
	v_mbcnt_hi_u32_b32 v98, -1, v1
	v_lshlrev_b32_e32 v29, 16, v36
	v_fmac_f32_e32 v51, v25, v28
	v_and_b32_e32 v26, 64, v98
	v_and_b32_e32 v34, 0xffff0000, v36
	s_waitcnt vmcnt(1)
	v_fmac_f32_e32 v51, v18, v29
	v_xor_b32_e32 v1, 16, v98
	v_add_u32_e32 v26, 64, v26
	v_lshlrev_b32_e32 v35, 16, v37
	v_fmac_f32_e32 v51, v19, v34
	v_cmp_lt_i32_e32 vcc, v1, v26
	v_and_b32_e32 v36, 0xffff0000, v37
	v_fmac_f32_e32 v51, v20, v35
	v_cndmask_b32_e32 v1, v98, v1, vcc
	v_fmac_f32_e32 v51, v21, v36
	v_lshlrev_b32_e32 v1, 2, v1
	ds_bpermute_b32 v27, v1, v51
	v_xor_b32_e32 v28, 8, v98
	v_cmp_lt_i32_e32 vcc, v28, v26
	v_cndmask_b32_e32 v28, v98, v28, vcc
	v_lshlrev_b32_e32 v86, 2, v28
	s_waitcnt lgkmcnt(0)
	v_add_f32_e32 v27, v51, v27
	ds_bpermute_b32 v28, v86, v27
	v_xor_b32_e32 v29, 4, v98
	v_cmp_lt_i32_e32 vcc, v29, v26
	v_cndmask_b32_e32 v29, v98, v29, vcc
	v_lshlrev_b32_e32 v87, 2, v29
	s_waitcnt lgkmcnt(0)
	v_add_f32_e32 v27, v27, v28
	ds_bpermute_b32 v28, v87, v27
	v_add_co_u32_e32 v96, vcc, s0, v44
	v_addc_co_u32_e32 v97, vcc, 0, v45, vcc
	v_xor_b32_e32 v99, 2, v98
	v_xor_b32_e32 v101, 1, v98
	global_load_dwordx4 v[54:57], v[38:39], off offset:2048
	global_load_dwordx4 v[30:33], v[42:43], off offset:2048
	v_cmp_lt_i32_e32 vcc, v99, v26
	s_waitcnt lgkmcnt(0)
	v_add_f32_e32 v100, v27, v28
	v_cmp_lt_i32_e64 s[0:1], v101, v26
	global_load_dwordx4 v[82:85], v[92:93], off
	global_load_dwordx4 v[78:81], v[92:93], off offset:2048
	global_load_dwordx4 v[58:61], v[94:95], off
	global_load_dwordx4 v[50:53], v[94:95], off offset:2048
	global_load_dwordx4 v[74:77], v[88:89], off offset:-4096
	global_load_dwordx4 v[66:69], v[88:89], off
	global_load_dwordx4 v[62:65], v[88:89], off offset:2048
	global_load_dwordx4 v[46:49], v[90:91], off offset:-4096
	global_load_dwordx4 v[38:41], v[90:91], off offset:2048
	global_load_dwordx4 v[42:45], v[90:91], off
	global_load_dwordx4 v[34:37], v[96:97], off
	global_load_dwordx4 v[26:29], v[96:97], off offset:2048
	v_cndmask_b32_e32 v88, v98, v99, vcc
	v_lshlrev_b32_e32 v89, 2, v88
	ds_bpermute_b32 v88, v89, v100
	v_cndmask_b32_e64 v90, v98, v101, s[0:1]
	v_and_b32_e32 v91, 31, v0
	v_cmp_eq_u32_e32 vcc, 0, v91
	v_lshlrev_b32_e32 v90, 2, v90
	s_waitcnt lgkmcnt(0)
	v_add_f32_e32 v91, v100, v88
	ds_bpermute_b32 v92, v90, v91
	v_lshrrev_b32_e32 v88, 5, v0
	v_lshlrev_b32_e32 v88, 2, v88
	s_and_saveexec_b64 s[0:1], vcc
	s_cbranch_execz .LBB37_2
; %bb.1:
	s_waitcnt lgkmcnt(0)
	v_add_f32_e32 v91, v91, v92
	ds_write_b32 v88, v91
.LBB37_2:
	s_or_b64 exec, exec, s[0:1]
	s_waitcnt vmcnt(14)
	v_lshlrev_b32_e32 v91, 16, v70
	v_and_b32_e32 v70, 0xffff0000, v70
	v_fma_f32 v91, v14, v91, 0
	s_waitcnt lgkmcnt(0)
	v_lshlrev_b32_e32 v92, 16, v71
	v_fmac_f32_e32 v91, v15, v70
	v_and_b32_e32 v71, 0xffff0000, v71
	v_fmac_f32_e32 v91, v16, v92
	v_lshlrev_b32_e32 v93, 16, v72
	v_fmac_f32_e32 v91, v17, v71
	v_and_b32_e32 v72, 0xffff0000, v72
	v_fmac_f32_e32 v91, v10, v93
	;; [unrolled: 4-line block ×3, first 2 shown]
	v_fmac_f32_e32 v91, v13, v73
	s_waitcnt vmcnt(11)
	v_lshlrev_b32_e32 v70, 16, v82
	v_and_b32_e32 v71, 0xffff0000, v82
	v_fmac_f32_e32 v91, v6, v70
	v_lshlrev_b32_e32 v72, 16, v83
	v_fmac_f32_e32 v91, v7, v71
	v_and_b32_e32 v73, 0xffff0000, v83
	v_fmac_f32_e32 v91, v8, v72
	v_lshlrev_b32_e32 v82, 16, v84
	v_fmac_f32_e32 v91, v9, v73
	v_and_b32_e32 v83, 0xffff0000, v84
	v_fmac_f32_e32 v91, v2, v82
	v_lshlrev_b32_e32 v84, 16, v85
	v_fmac_f32_e32 v91, v3, v83
	v_and_b32_e32 v85, 0xffff0000, v85
	v_fmac_f32_e32 v91, v4, v84
	v_fmac_f32_e32 v91, v5, v85
	s_waitcnt vmcnt(10)
	v_lshlrev_b32_e32 v70, 16, v78
	v_and_b32_e32 v71, 0xffff0000, v78
	v_fmac_f32_e32 v91, v22, v70
	v_lshlrev_b32_e32 v72, 16, v79
	v_fmac_f32_e32 v91, v23, v71
	v_and_b32_e32 v73, 0xffff0000, v79
	v_fmac_f32_e32 v91, v24, v72
	v_lshlrev_b32_e32 v78, 16, v80
	v_fmac_f32_e32 v91, v25, v73
	;; [unrolled: 4-line block ×3, first 2 shown]
	v_and_b32_e32 v81, 0xffff0000, v81
	v_fmac_f32_e32 v91, v20, v80
	v_fmac_f32_e32 v91, v21, v81
	ds_bpermute_b32 v70, v1, v91
	s_waitcnt lgkmcnt(0)
	v_add_f32_e32 v70, v91, v70
	ds_bpermute_b32 v71, v86, v70
	s_waitcnt lgkmcnt(0)
	v_add_f32_e32 v70, v70, v71
	;; [unrolled: 3-line block ×4, first 2 shown]
	ds_bpermute_b32 v71, v90, v70
	s_and_saveexec_b64 s[0:1], vcc
	s_cbranch_execz .LBB37_4
; %bb.3:
	s_waitcnt lgkmcnt(0)
	v_add_f32_e32 v70, v70, v71
	ds_write_b32 v88, v70 offset:16
.LBB37_4:
	s_or_b64 exec, exec, s[0:1]
	s_waitcnt vmcnt(7)
	v_lshlrev_b32_e32 v70, 16, v74
	s_waitcnt lgkmcnt(0)
	v_and_b32_e32 v71, 0xffff0000, v74
	v_fma_f32 v70, v14, v70, 0
	v_lshlrev_b32_e32 v72, 16, v75
	v_fmac_f32_e32 v70, v15, v71
	v_and_b32_e32 v73, 0xffff0000, v75
	v_fmac_f32_e32 v70, v16, v72
	v_lshlrev_b32_e32 v74, 16, v76
	v_fmac_f32_e32 v70, v17, v73
	v_and_b32_e32 v75, 0xffff0000, v76
	v_fmac_f32_e32 v70, v10, v74
	;; [unrolled: 4-line block ×3, first 2 shown]
	v_fmac_f32_e32 v70, v13, v77
	v_lshlrev_b32_e32 v71, 16, v54
	v_and_b32_e32 v54, 0xffff0000, v54
	v_fmac_f32_e32 v70, v6, v71
	v_lshlrev_b32_e32 v72, 16, v55
	v_fmac_f32_e32 v70, v7, v54
	v_and_b32_e32 v55, 0xffff0000, v55
	v_fmac_f32_e32 v70, v8, v72
	v_lshlrev_b32_e32 v73, 16, v56
	v_fmac_f32_e32 v70, v9, v55
	;; [unrolled: 4-line block ×3, first 2 shown]
	v_and_b32_e32 v57, 0xffff0000, v57
	v_fmac_f32_e32 v70, v4, v74
	v_fmac_f32_e32 v70, v5, v57
	s_waitcnt vmcnt(6)
	v_lshlrev_b32_e32 v54, 16, v66
	v_and_b32_e32 v55, 0xffff0000, v66
	v_fmac_f32_e32 v70, v22, v54
	v_lshlrev_b32_e32 v56, 16, v67
	v_fmac_f32_e32 v70, v23, v55
	v_and_b32_e32 v57, 0xffff0000, v67
	v_fmac_f32_e32 v70, v24, v56
	v_lshlrev_b32_e32 v66, 16, v68
	v_fmac_f32_e32 v70, v25, v57
	;; [unrolled: 4-line block ×3, first 2 shown]
	v_and_b32_e32 v69, 0xffff0000, v69
	v_fmac_f32_e32 v70, v20, v68
	v_fmac_f32_e32 v70, v21, v69
	ds_bpermute_b32 v54, v1, v70
	s_waitcnt lgkmcnt(0)
	v_add_f32_e32 v54, v70, v54
	ds_bpermute_b32 v55, v86, v54
	s_waitcnt lgkmcnt(0)
	v_add_f32_e32 v54, v54, v55
	;; [unrolled: 3-line block ×4, first 2 shown]
	ds_bpermute_b32 v55, v90, v54
	s_and_saveexec_b64 s[0:1], vcc
	s_cbranch_execz .LBB37_6
; %bb.5:
	s_waitcnt lgkmcnt(0)
	v_add_f32_e32 v54, v54, v55
	ds_write_b32 v88, v54 offset:32
.LBB37_6:
	s_or_b64 exec, exec, s[0:1]
	s_waitcnt vmcnt(5)
	v_lshlrev_b32_e32 v54, 16, v62
	s_waitcnt lgkmcnt(0)
	v_and_b32_e32 v55, 0xffff0000, v62
	v_fma_f32 v54, v14, v54, 0
	v_lshlrev_b32_e32 v56, 16, v63
	v_fmac_f32_e32 v54, v15, v55
	v_and_b32_e32 v57, 0xffff0000, v63
	v_fmac_f32_e32 v54, v16, v56
	v_lshlrev_b32_e32 v62, 16, v64
	v_fmac_f32_e32 v54, v17, v57
	v_and_b32_e32 v63, 0xffff0000, v64
	v_fmac_f32_e32 v54, v10, v62
	;; [unrolled: 4-line block ×3, first 2 shown]
	v_fmac_f32_e32 v54, v13, v65
	v_lshlrev_b32_e32 v55, 16, v58
	v_and_b32_e32 v56, 0xffff0000, v58
	v_fmac_f32_e32 v54, v6, v55
	v_lshlrev_b32_e32 v57, 16, v59
	v_fmac_f32_e32 v54, v7, v56
	v_and_b32_e32 v58, 0xffff0000, v59
	v_fmac_f32_e32 v54, v8, v57
	v_lshlrev_b32_e32 v59, 16, v60
	v_fmac_f32_e32 v54, v9, v58
	;; [unrolled: 4-line block ×3, first 2 shown]
	v_and_b32_e32 v61, 0xffff0000, v61
	v_fmac_f32_e32 v54, v4, v62
	v_fmac_f32_e32 v54, v5, v61
	v_lshlrev_b32_e32 v55, 16, v50
	v_and_b32_e32 v50, 0xffff0000, v50
	v_fmac_f32_e32 v54, v22, v55
	v_lshlrev_b32_e32 v56, 16, v51
	v_fmac_f32_e32 v54, v23, v50
	v_and_b32_e32 v51, 0xffff0000, v51
	v_fmac_f32_e32 v54, v24, v56
	v_lshlrev_b32_e32 v57, 16, v52
	v_fmac_f32_e32 v54, v25, v51
	v_and_b32_e32 v52, 0xffff0000, v52
	v_fmac_f32_e32 v54, v18, v57
	v_lshlrev_b32_e32 v58, 16, v53
	v_fmac_f32_e32 v54, v19, v52
	v_and_b32_e32 v53, 0xffff0000, v53
	v_fmac_f32_e32 v54, v20, v58
	v_fmac_f32_e32 v54, v21, v53
	ds_bpermute_b32 v50, v1, v54
	s_waitcnt lgkmcnt(0)
	v_add_f32_e32 v50, v54, v50
	ds_bpermute_b32 v51, v86, v50
	s_waitcnt lgkmcnt(0)
	v_add_f32_e32 v50, v50, v51
	;; [unrolled: 3-line block ×4, first 2 shown]
	ds_bpermute_b32 v51, v90, v50
	s_and_saveexec_b64 s[0:1], vcc
	s_cbranch_execz .LBB37_8
; %bb.7:
	s_waitcnt lgkmcnt(0)
	v_add_f32_e32 v50, v50, v51
	ds_write_b32 v88, v50 offset:48
.LBB37_8:
	s_or_b64 exec, exec, s[0:1]
	s_waitcnt vmcnt(4)
	v_lshlrev_b32_e32 v50, 16, v46
	v_and_b32_e32 v46, 0xffff0000, v46
	v_fma_f32 v50, v14, v50, 0
	s_waitcnt lgkmcnt(0)
	v_lshlrev_b32_e32 v51, 16, v47
	v_fmac_f32_e32 v50, v15, v46
	v_and_b32_e32 v47, 0xffff0000, v47
	v_fmac_f32_e32 v50, v16, v51
	v_lshlrev_b32_e32 v52, 16, v48
	v_fmac_f32_e32 v50, v17, v47
	v_and_b32_e32 v48, 0xffff0000, v48
	v_fmac_f32_e32 v50, v10, v52
	;; [unrolled: 4-line block ×3, first 2 shown]
	v_fmac_f32_e32 v50, v13, v49
	v_lshlrev_b32_e32 v46, 16, v30
	v_and_b32_e32 v30, 0xffff0000, v30
	v_fmac_f32_e32 v50, v6, v46
	v_lshlrev_b32_e32 v47, 16, v31
	v_fmac_f32_e32 v50, v7, v30
	v_and_b32_e32 v31, 0xffff0000, v31
	v_fmac_f32_e32 v50, v8, v47
	v_lshlrev_b32_e32 v48, 16, v32
	v_fmac_f32_e32 v50, v9, v31
	;; [unrolled: 4-line block ×3, first 2 shown]
	v_and_b32_e32 v33, 0xffff0000, v33
	v_fmac_f32_e32 v50, v4, v49
	v_fmac_f32_e32 v50, v5, v33
	s_waitcnt vmcnt(2)
	v_lshlrev_b32_e32 v30, 16, v42
	v_and_b32_e32 v31, 0xffff0000, v42
	v_fmac_f32_e32 v50, v22, v30
	v_lshlrev_b32_e32 v32, 16, v43
	v_fmac_f32_e32 v50, v23, v31
	v_and_b32_e32 v33, 0xffff0000, v43
	v_fmac_f32_e32 v50, v24, v32
	v_lshlrev_b32_e32 v42, 16, v44
	v_fmac_f32_e32 v50, v25, v33
	;; [unrolled: 4-line block ×3, first 2 shown]
	v_and_b32_e32 v45, 0xffff0000, v45
	v_fmac_f32_e32 v50, v20, v44
	v_fmac_f32_e32 v50, v21, v45
	ds_bpermute_b32 v30, v1, v50
	s_waitcnt lgkmcnt(0)
	v_add_f32_e32 v30, v50, v30
	ds_bpermute_b32 v31, v86, v30
	s_waitcnt lgkmcnt(0)
	v_add_f32_e32 v30, v30, v31
	ds_bpermute_b32 v31, v87, v30
	s_waitcnt lgkmcnt(0)
	v_add_f32_e32 v30, v30, v31
	ds_bpermute_b32 v31, v89, v30
	s_waitcnt lgkmcnt(0)
	v_add_f32_e32 v30, v30, v31
	ds_bpermute_b32 v31, v90, v30
	s_and_saveexec_b64 s[0:1], vcc
	s_cbranch_execz .LBB37_10
; %bb.9:
	s_waitcnt lgkmcnt(0)
	v_add_f32_e32 v30, v30, v31
	ds_write_b32 v88, v30 offset:64
.LBB37_10:
	s_or_b64 exec, exec, s[0:1]
	v_lshlrev_b32_e32 v30, 16, v38
	s_waitcnt lgkmcnt(0)
	v_and_b32_e32 v31, 0xffff0000, v38
	v_fma_f32 v14, v14, v30, 0
	v_lshlrev_b32_e32 v32, 16, v39
	v_fmac_f32_e32 v14, v15, v31
	v_and_b32_e32 v33, 0xffff0000, v39
	v_fmac_f32_e32 v14, v16, v32
	v_lshlrev_b32_e32 v38, 16, v40
	v_fmac_f32_e32 v14, v17, v33
	v_and_b32_e32 v39, 0xffff0000, v40
	v_fmac_f32_e32 v14, v10, v38
	;; [unrolled: 4-line block ×3, first 2 shown]
	v_fmac_f32_e32 v14, v13, v41
	s_waitcnt vmcnt(1)
	v_lshlrev_b32_e32 v10, 16, v34
	v_and_b32_e32 v11, 0xffff0000, v34
	v_fmac_f32_e32 v14, v6, v10
	v_lshlrev_b32_e32 v12, 16, v35
	v_fmac_f32_e32 v14, v7, v11
	v_and_b32_e32 v13, 0xffff0000, v35
	v_fmac_f32_e32 v14, v8, v12
	v_lshlrev_b32_e32 v15, 16, v36
	v_fmac_f32_e32 v14, v9, v13
	;; [unrolled: 4-line block ×3, first 2 shown]
	v_and_b32_e32 v30, 0xffff0000, v37
	v_fmac_f32_e32 v14, v4, v17
	v_fmac_f32_e32 v14, v5, v30
	s_waitcnt vmcnt(0)
	v_lshlrev_b32_e32 v2, 16, v26
	v_and_b32_e32 v3, 0xffff0000, v26
	v_fmac_f32_e32 v14, v22, v2
	v_lshlrev_b32_e32 v4, 16, v27
	v_fmac_f32_e32 v14, v23, v3
	v_and_b32_e32 v5, 0xffff0000, v27
	v_fmac_f32_e32 v14, v24, v4
	v_lshlrev_b32_e32 v6, 16, v28
	v_fmac_f32_e32 v14, v25, v5
	;; [unrolled: 4-line block ×3, first 2 shown]
	v_and_b32_e32 v9, 0xffff0000, v29
	v_fmac_f32_e32 v14, v20, v8
	v_fmac_f32_e32 v14, v21, v9
	ds_bpermute_b32 v1, v1, v14
	s_waitcnt lgkmcnt(0)
	v_add_f32_e32 v1, v14, v1
	ds_bpermute_b32 v2, v86, v1
	s_waitcnt lgkmcnt(0)
	v_add_f32_e32 v1, v1, v2
	;; [unrolled: 3-line block ×4, first 2 shown]
	ds_bpermute_b32 v2, v90, v1
	s_and_saveexec_b64 s[0:1], vcc
	s_cbranch_execz .LBB37_12
; %bb.11:
	s_waitcnt lgkmcnt(0)
	v_add_f32_e32 v1, v1, v2
	ds_write_b32 v88, v1 offset:80
.LBB37_12:
	s_or_b64 exec, exec, s[0:1]
	v_cmp_eq_u32_e32 vcc, 0, v0
	s_waitcnt lgkmcnt(0)
	s_barrier
	s_and_saveexec_b64 s[0:1], vcc
	s_cbranch_execz .LBB37_14
; %bb.13:
	v_mov_b32_e32 v16, 0
	ds_read_b128 v[0:3], v16
	s_ashr_i32 s7, s6, 31
	ds_read_b128 v[4:7], v16 offset:16
	ds_read_b128 v[8:11], v16 offset:32
	ds_read_b128 v[12:15], v16 offset:48
	s_lshl_b64 s[0:1], s[6:7], 2
	s_add_u32 s0, s8, s0
	s_waitcnt lgkmcnt(3)
	v_add_f32_e32 v0, 0, v0
	v_add_f32_e32 v0, v0, v1
	;; [unrolled: 1-line block ×4, first 2 shown]
	s_addc_u32 s1, s9, s1
	global_store_dword v16, v0, s[0:1]
	s_waitcnt lgkmcnt(2)
	v_add_f32_e32 v0, 0, v4
	v_add_f32_e32 v0, v0, v5
	;; [unrolled: 1-line block ×4, first 2 shown]
	global_store_dword v16, v0, s[0:1] offset:1024
	s_waitcnt lgkmcnt(1)
	v_add_f32_e32 v0, 0, v8
	v_add_f32_e32 v0, v0, v9
	v_add_f32_e32 v0, v0, v10
	v_add_f32_e32 v0, v0, v11
	global_store_dword v16, v0, s[0:1] offset:2048
	s_waitcnt lgkmcnt(0)
	v_add_f32_e32 v0, 0, v12
	v_add_f32_e32 v4, v0, v13
	ds_read_b128 v[0:3], v16 offset:64
	v_add_f32_e32 v4, v4, v14
	v_add_f32_e32 v4, v4, v15
	global_store_dword v16, v4, s[0:1] offset:3072
	ds_read_b128 v[4:7], v16 offset:80
	s_waitcnt lgkmcnt(1)
	v_add_f32_e32 v0, 0, v0
	v_add_f32_e32 v0, v0, v1
	;; [unrolled: 1-line block ×4, first 2 shown]
	v_mov_b32_e32 v1, 0x1000
	global_store_dword v1, v0, s[0:1]
	s_waitcnt lgkmcnt(0)
	v_add_f32_e32 v0, 0, v4
	v_add_f32_e32 v0, v0, v5
	;; [unrolled: 1-line block ×4, first 2 shown]
	global_store_dword v1, v0, s[0:1] offset:1024
.LBB37_14:
	s_endpgm
	.section	.rodata,"a",@progbits
	.p2align	6, 0x0
	.amdhsa_kernel _Z23fp32_router_gemm_kernelI14__hip_bfloat16Li128ELi6ELi256ELi3072EEvPfPKT_PKf
		.amdhsa_group_segment_fixed_size 96
		.amdhsa_private_segment_fixed_size 0
		.amdhsa_kernarg_size 24
		.amdhsa_user_sgpr_count 6
		.amdhsa_user_sgpr_private_segment_buffer 1
		.amdhsa_user_sgpr_dispatch_ptr 0
		.amdhsa_user_sgpr_queue_ptr 0
		.amdhsa_user_sgpr_kernarg_segment_ptr 1
		.amdhsa_user_sgpr_dispatch_id 0
		.amdhsa_user_sgpr_flat_scratch_init 0
		.amdhsa_user_sgpr_kernarg_preload_length 0
		.amdhsa_user_sgpr_kernarg_preload_offset 0
		.amdhsa_user_sgpr_private_segment_size 0
		.amdhsa_uses_dynamic_stack 0
		.amdhsa_system_sgpr_private_segment_wavefront_offset 0
		.amdhsa_system_sgpr_workgroup_id_x 1
		.amdhsa_system_sgpr_workgroup_id_y 0
		.amdhsa_system_sgpr_workgroup_id_z 0
		.amdhsa_system_sgpr_workgroup_info 0
		.amdhsa_system_vgpr_workitem_id 0
		.amdhsa_next_free_vgpr 102
		.amdhsa_next_free_sgpr 12
		.amdhsa_accum_offset 104
		.amdhsa_reserve_vcc 1
		.amdhsa_reserve_flat_scratch 0
		.amdhsa_float_round_mode_32 0
		.amdhsa_float_round_mode_16_64 0
		.amdhsa_float_denorm_mode_32 3
		.amdhsa_float_denorm_mode_16_64 3
		.amdhsa_dx10_clamp 1
		.amdhsa_ieee_mode 1
		.amdhsa_fp16_overflow 0
		.amdhsa_tg_split 0
		.amdhsa_exception_fp_ieee_invalid_op 0
		.amdhsa_exception_fp_denorm_src 0
		.amdhsa_exception_fp_ieee_div_zero 0
		.amdhsa_exception_fp_ieee_overflow 0
		.amdhsa_exception_fp_ieee_underflow 0
		.amdhsa_exception_fp_ieee_inexact 0
		.amdhsa_exception_int_div_zero 0
	.end_amdhsa_kernel
	.section	.text._Z23fp32_router_gemm_kernelI14__hip_bfloat16Li128ELi6ELi256ELi3072EEvPfPKT_PKf,"axG",@progbits,_Z23fp32_router_gemm_kernelI14__hip_bfloat16Li128ELi6ELi256ELi3072EEvPfPKT_PKf,comdat
.Lfunc_end37:
	.size	_Z23fp32_router_gemm_kernelI14__hip_bfloat16Li128ELi6ELi256ELi3072EEvPfPKT_PKf, .Lfunc_end37-_Z23fp32_router_gemm_kernelI14__hip_bfloat16Li128ELi6ELi256ELi3072EEvPfPKT_PKf
                                        ; -- End function
	.section	.AMDGPU.csdata,"",@progbits
; Kernel info:
; codeLenInByte = 2932
; NumSgprs: 16
; NumVgprs: 102
; NumAgprs: 0
; TotalNumVgprs: 102
; ScratchSize: 0
; MemoryBound: 0
; FloatMode: 240
; IeeeMode: 1
; LDSByteSize: 96 bytes/workgroup (compile time only)
; SGPRBlocks: 1
; VGPRBlocks: 12
; NumSGPRsForWavesPerEU: 16
; NumVGPRsForWavesPerEU: 102
; AccumOffset: 104
; Occupancy: 4
; WaveLimiterHint : 1
; COMPUTE_PGM_RSRC2:SCRATCH_EN: 0
; COMPUTE_PGM_RSRC2:USER_SGPR: 6
; COMPUTE_PGM_RSRC2:TRAP_HANDLER: 0
; COMPUTE_PGM_RSRC2:TGID_X_EN: 1
; COMPUTE_PGM_RSRC2:TGID_Y_EN: 0
; COMPUTE_PGM_RSRC2:TGID_Z_EN: 0
; COMPUTE_PGM_RSRC2:TIDIG_COMP_CNT: 0
; COMPUTE_PGM_RSRC3_GFX90A:ACCUM_OFFSET: 25
; COMPUTE_PGM_RSRC3_GFX90A:TG_SPLIT: 0
	.section	.text._Z23fp32_router_gemm_kernelI14__hip_bfloat16Li128ELi7ELi256ELi3072EEvPfPKT_PKf,"axG",@progbits,_Z23fp32_router_gemm_kernelI14__hip_bfloat16Li128ELi7ELi256ELi3072EEvPfPKT_PKf,comdat
	.protected	_Z23fp32_router_gemm_kernelI14__hip_bfloat16Li128ELi7ELi256ELi3072EEvPfPKT_PKf ; -- Begin function _Z23fp32_router_gemm_kernelI14__hip_bfloat16Li128ELi7ELi256ELi3072EEvPfPKT_PKf
	.globl	_Z23fp32_router_gemm_kernelI14__hip_bfloat16Li128ELi7ELi256ELi3072EEvPfPKT_PKf
	.p2align	8
	.type	_Z23fp32_router_gemm_kernelI14__hip_bfloat16Li128ELi7ELi256ELi3072EEvPfPKT_PKf,@function
_Z23fp32_router_gemm_kernelI14__hip_bfloat16Li128ELi7ELi256ELi3072EEvPfPKT_PKf: ; @_Z23fp32_router_gemm_kernelI14__hip_bfloat16Li128ELi7ELi256ELi3072EEvPfPKT_PKf
; %bb.0:
	s_load_dwordx4 s[0:3], s[4:5], 0x0
	s_load_dwordx2 s[8:9], s[4:5], 0x10
	s_mul_i32 s4, s6, 0xc00
	s_ashr_i32 s5, s4, 31
	s_lshl_b64 s[4:5], s[4:5], 2
	v_lshlrev_b32_e32 v6, 3, v0
	s_waitcnt lgkmcnt(0)
	s_add_u32 s4, s8, s4
	v_or_b32_e32 v1, 0x400, v6
	v_or_b32_e32 v8, 0x800, v6
	s_addc_u32 s5, s9, s5
	s_mov_b64 s[8:9], 0
	v_mov_b32_e32 v23, 0
	v_mov_b32_e32 v21, s3
	s_movk_i32 s7, 0x1000
	s_movk_i32 s10, 0x3000
	;; [unrolled: 1-line block ×5, first 2 shown]
	s_mov_b32 s14, 0x9000
	v_mov_b32_e32 v22, 0
	v_mov_b32_e32 v20, 0
	;; [unrolled: 1-line block ×6, first 2 shown]
.LBB38_1:                               ; =>This Inner Loop Header: Depth=1
	s_cmp_eq_u32 s8, 1
	s_cselect_b64 vcc, -1, 0
	s_cmp_eq_u32 s8, 2
	v_cndmask_b32_e32 v2, v6, v1, vcc
	s_cselect_b64 vcc, -1, 0
	v_cndmask_b32_e32 v78, v2, v8, vcc
	v_lshlrev_b32_e32 v10, 1, v78
	v_add_co_u32_e32 v24, vcc, s2, v10
	v_addc_co_u32_e32 v25, vcc, 0, v21, vcc
	global_load_dwordx4 v[2:5], v10, s[2:3]
	v_add_co_u32_e32 v10, vcc, s7, v24
	v_addc_co_u32_e32 v11, vcc, 0, v25, vcc
	v_add_co_u32_e32 v12, vcc, s10, v24
	v_addc_co_u32_e32 v13, vcc, 0, v25, vcc
	;; [unrolled: 2-line block ×6, first 2 shown]
	global_load_dwordx4 v[24:27], v[10:11], off offset:2048
	global_load_dwordx4 v[28:31], v[12:13], off
	global_load_dwordx4 v[32:35], v[14:15], off offset:2048
	global_load_dwordx4 v[36:39], v[16:17], off
	;; [unrolled: 2-line block ×3, first 2 shown]
	s_add_u32 s8, s8, 1
	s_addc_u32 s9, s9, 0
	s_cmp_eq_u32 s8, 3
	s_waitcnt vmcnt(6)
	v_and_b32_e32 v15, 0xffff0000, v2
	v_lshlrev_b32_e32 v14, 16, v2
	v_and_b32_e32 v17, 0xffff0000, v3
	v_lshlrev_b32_e32 v16, 16, v3
	;; [unrolled: 2-line block ×4, first 2 shown]
	s_waitcnt vmcnt(5)
	v_and_b32_e32 v53, 0xffff0000, v24
	v_lshlrev_b32_e32 v52, 16, v24
	s_waitcnt vmcnt(4)
	v_and_b32_e32 v55, 0xffff0000, v28
	v_lshlrev_b32_e32 v54, 16, v28
	;; [unrolled: 3-line block ×3, first 2 shown]
	v_and_b32_e32 v59, 0xffff0000, v25
	v_lshlrev_b32_e32 v58, 16, v25
	v_and_b32_e32 v25, 0xffff0000, v29
	v_lshlrev_b32_e32 v24, 16, v29
	;; [unrolled: 2-line block ×9, first 2 shown]
	s_waitcnt vmcnt(2)
	v_and_b32_e32 v35, 0xffff0000, v36
	v_lshlrev_b32_e32 v34, 16, v36
	v_and_b32_e32 v67, 0xffff0000, v37
	v_lshlrev_b32_e32 v66, 16, v37
	v_and_b32_e32 v37, 0xffff0000, v38
	v_lshlrev_b32_e32 v36, 16, v38
	v_and_b32_e32 v69, 0xffff0000, v39
	v_lshlrev_b32_e32 v68, 16, v39
	s_waitcnt vmcnt(1)
	v_and_b32_e32 v39, 0xffff0000, v40
	v_lshlrev_b32_e32 v38, 16, v40
	v_and_b32_e32 v71, 0xffff0000, v41
	v_lshlrev_b32_e32 v70, 16, v41
	;; [unrolled: 2-line block ×4, first 2 shown]
	s_waitcnt vmcnt(0)
	v_and_b32_e32 v43, 0xffff0000, v44
	v_lshlrev_b32_e32 v42, 16, v44
	v_and_b32_e32 v75, 0xffff0000, v45
	v_lshlrev_b32_e32 v74, 16, v45
	;; [unrolled: 2-line block ×3, first 2 shown]
	v_lshlrev_b32_e32 v46, 2, v78
	global_load_dwordx4 v[2:5], v46, s[4:5]
	global_load_dwordx4 v[10:13], v46, s[4:5] offset:16
	v_and_b32_e32 v77, 0xffff0000, v47
	v_lshlrev_b32_e32 v76, 16, v47
	s_waitcnt vmcnt(1)
	v_pk_mul_f32 v[14:15], v[2:3], v[14:15]
	v_add_f32_e32 v14, v23, v14
	v_pk_mul_f32 v[16:17], v[4:5], v[16:17]
	v_pk_mul_f32 v[46:47], v[2:3], v[52:53]
	;; [unrolled: 1-line block ×7, first 2 shown]
	v_add_f32_e32 v14, v14, v15
	v_add_f32_e32 v14, v14, v16
	;; [unrolled: 1-line block ×8, first 2 shown]
	v_pk_mul_f32 v[42:43], v[4:5], v[58:59]
	v_pk_mul_f32 v[24:25], v[4:5], v[24:25]
	;; [unrolled: 1-line block ×6, first 2 shown]
	s_waitcnt vmcnt(0)
	v_pk_mul_f32 v[48:49], v[10:11], v[48:49]
	v_add_f32_e32 v7, v14, v17
	v_add_f32_e32 v14, v15, v47
	;; [unrolled: 1-line block ×14, first 2 shown]
	v_pk_mul_f32 v[50:51], v[12:13], v[50:51]
	v_pk_mul_f32 v[32:33], v[10:11], v[32:33]
	;; [unrolled: 1-line block ×7, first 2 shown]
	v_add_f32_e32 v3, v3, v49
	v_add_f32_e32 v4, v7, v43
	;; [unrolled: 1-line block ×14, first 2 shown]
	v_pk_mul_f32 v[44:45], v[12:13], v[60:61]
	v_pk_mul_f32 v[60:61], v[12:13], v[62:63]
	;; [unrolled: 1-line block ×6, first 2 shown]
	v_add_f32_e32 v23, v3, v51
	v_add_f32_e32 v3, v4, v33
	v_add_f32_e32 v4, v5, v27
	v_add_f32_e32 v5, v7, v31
	v_add_f32_e32 v7, v14, v37
	v_add_f32_e32 v9, v9, v41
	v_add_f32_e32 v2, v2, v11
	v_add_f32_e32 v3, v3, v44
	v_add_f32_e32 v4, v4, v60
	v_add_f32_e32 v5, v5, v62
	v_add_f32_e32 v7, v7, v64
	v_add_f32_e32 v9, v9, v66
	v_add_f32_e32 v2, v2, v12
	v_add_f32_e32 v22, v3, v45
	v_add_f32_e32 v20, v4, v61
	v_add_f32_e32 v19, v5, v63
	v_add_f32_e32 v18, v7, v65
	v_add_f32_e32 v9, v9, v67
	v_add_f32_e32 v7, v2, v13
	s_cbranch_scc0 .LBB38_1
; %bb.2:
	v_mbcnt_lo_u32_b32 v1, -1, 0
	v_mbcnt_hi_u32_b32 v5, -1, v1
	v_and_b32_e32 v2, 64, v5
	v_xor_b32_e32 v1, 16, v5
	v_add_u32_e32 v6, 64, v2
	v_cmp_lt_i32_e32 vcc, v1, v6
	v_cndmask_b32_e32 v1, v5, v1, vcc
	v_lshlrev_b32_e32 v1, 2, v1
	ds_bpermute_b32 v3, v1, v23
	v_xor_b32_e32 v2, 8, v5
	v_cmp_lt_i32_e32 vcc, v2, v6
	v_cndmask_b32_e32 v2, v5, v2, vcc
	v_lshlrev_b32_e32 v2, 2, v2
	s_waitcnt lgkmcnt(0)
	v_add_f32_e32 v4, v23, v3
	ds_bpermute_b32 v8, v2, v4
	v_xor_b32_e32 v3, 4, v5
	v_cmp_lt_i32_e32 vcc, v3, v6
	v_cndmask_b32_e32 v3, v5, v3, vcc
	v_lshlrev_b32_e32 v3, 2, v3
	s_waitcnt lgkmcnt(0)
	v_add_f32_e32 v8, v4, v8
	;; [unrolled: 7-line block ×4, first 2 shown]
	ds_bpermute_b32 v10, v6, v8
	v_lshrrev_b32_e32 v5, 5, v0
	v_and_b32_e32 v11, 31, v0
	v_cmp_eq_u32_e32 vcc, 0, v11
	v_lshlrev_b32_e32 v5, 2, v5
	s_and_saveexec_b64 s[2:3], vcc
	s_cbranch_execz .LBB38_4
; %bb.3:
	s_waitcnt lgkmcnt(0)
	v_add_f32_e32 v8, v8, v10
	ds_write_b32 v5, v8
.LBB38_4:
	s_or_b64 exec, exec, s[2:3]
	ds_bpermute_b32 v8, v1, v22
	s_waitcnt lgkmcnt(0)
	v_add_f32_e32 v8, v22, v8
	ds_bpermute_b32 v10, v2, v8
	s_waitcnt lgkmcnt(0)
	v_add_f32_e32 v8, v8, v10
	ds_bpermute_b32 v10, v3, v8
	s_waitcnt lgkmcnt(0)
	v_add_f32_e32 v8, v8, v10
	ds_bpermute_b32 v10, v4, v8
	s_waitcnt lgkmcnt(0)
	v_add_f32_e32 v8, v8, v10
	ds_bpermute_b32 v10, v6, v8
	s_and_saveexec_b64 s[2:3], vcc
	s_cbranch_execz .LBB38_6
; %bb.5:
	s_waitcnt lgkmcnt(0)
	v_add_f32_e32 v8, v8, v10
	ds_write_b32 v5, v8 offset:16
.LBB38_6:
	s_or_b64 exec, exec, s[2:3]
	ds_bpermute_b32 v8, v1, v20
	s_waitcnt lgkmcnt(0)
	v_add_f32_e32 v8, v20, v8
	ds_bpermute_b32 v10, v2, v8
	s_waitcnt lgkmcnt(0)
	v_add_f32_e32 v8, v8, v10
	ds_bpermute_b32 v10, v3, v8
	s_waitcnt lgkmcnt(0)
	v_add_f32_e32 v8, v8, v10
	ds_bpermute_b32 v10, v4, v8
	s_waitcnt lgkmcnt(0)
	v_add_f32_e32 v8, v8, v10
	ds_bpermute_b32 v10, v6, v8
	s_and_saveexec_b64 s[2:3], vcc
	s_cbranch_execz .LBB38_8
; %bb.7:
	s_waitcnt lgkmcnt(0)
	v_add_f32_e32 v8, v8, v10
	ds_write_b32 v5, v8 offset:32
.LBB38_8:
	s_or_b64 exec, exec, s[2:3]
	ds_bpermute_b32 v8, v1, v19
	s_waitcnt lgkmcnt(0)
	v_add_f32_e32 v8, v19, v8
	ds_bpermute_b32 v10, v2, v8
	s_waitcnt lgkmcnt(0)
	v_add_f32_e32 v8, v8, v10
	ds_bpermute_b32 v10, v3, v8
	s_waitcnt lgkmcnt(0)
	v_add_f32_e32 v8, v8, v10
	ds_bpermute_b32 v10, v4, v8
	s_waitcnt lgkmcnt(0)
	v_add_f32_e32 v8, v8, v10
	ds_bpermute_b32 v10, v6, v8
	s_and_saveexec_b64 s[2:3], vcc
	s_cbranch_execz .LBB38_10
; %bb.9:
	s_waitcnt lgkmcnt(0)
	v_add_f32_e32 v8, v8, v10
	ds_write_b32 v5, v8 offset:48
.LBB38_10:
	s_or_b64 exec, exec, s[2:3]
	ds_bpermute_b32 v8, v1, v18
	s_waitcnt lgkmcnt(0)
	v_add_f32_e32 v8, v18, v8
	ds_bpermute_b32 v10, v2, v8
	s_waitcnt lgkmcnt(0)
	v_add_f32_e32 v8, v8, v10
	ds_bpermute_b32 v10, v3, v8
	s_waitcnt lgkmcnt(0)
	v_add_f32_e32 v8, v8, v10
	ds_bpermute_b32 v10, v4, v8
	s_waitcnt lgkmcnt(0)
	v_add_f32_e32 v8, v8, v10
	ds_bpermute_b32 v10, v6, v8
	s_and_saveexec_b64 s[2:3], vcc
	s_cbranch_execz .LBB38_12
; %bb.11:
	s_waitcnt lgkmcnt(0)
	v_add_f32_e32 v8, v8, v10
	ds_write_b32 v5, v8 offset:64
.LBB38_12:
	s_or_b64 exec, exec, s[2:3]
	ds_bpermute_b32 v8, v1, v9
	s_waitcnt lgkmcnt(0)
	v_add_f32_e32 v8, v9, v8
	ds_bpermute_b32 v9, v2, v8
	s_waitcnt lgkmcnt(0)
	v_add_f32_e32 v8, v8, v9
	ds_bpermute_b32 v9, v3, v8
	s_waitcnt lgkmcnt(0)
	v_add_f32_e32 v8, v8, v9
	ds_bpermute_b32 v9, v4, v8
	s_waitcnt lgkmcnt(0)
	v_add_f32_e32 v8, v8, v9
	ds_bpermute_b32 v9, v6, v8
	s_and_saveexec_b64 s[2:3], vcc
	s_cbranch_execz .LBB38_14
; %bb.13:
	s_waitcnt lgkmcnt(0)
	v_add_f32_e32 v8, v8, v9
	ds_write_b32 v5, v8 offset:80
.LBB38_14:
	s_or_b64 exec, exec, s[2:3]
	ds_bpermute_b32 v1, v1, v7
	s_waitcnt lgkmcnt(0)
	v_add_f32_e32 v1, v7, v1
	ds_bpermute_b32 v2, v2, v1
	s_waitcnt lgkmcnt(0)
	v_add_f32_e32 v1, v1, v2
	ds_bpermute_b32 v2, v3, v1
	s_waitcnt lgkmcnt(0)
	v_add_f32_e32 v1, v1, v2
	ds_bpermute_b32 v2, v4, v1
	s_waitcnt lgkmcnt(0)
	v_add_f32_e32 v1, v1, v2
	ds_bpermute_b32 v2, v6, v1
	s_and_saveexec_b64 s[2:3], vcc
	s_cbranch_execz .LBB38_16
; %bb.15:
	s_waitcnt lgkmcnt(0)
	v_add_f32_e32 v1, v1, v2
	ds_write_b32 v5, v1 offset:96
.LBB38_16:
	s_or_b64 exec, exec, s[2:3]
	v_cmp_eq_u32_e32 vcc, 0, v0
	s_waitcnt lgkmcnt(0)
	s_barrier
	s_and_saveexec_b64 s[2:3], vcc
	s_cbranch_execz .LBB38_18
; %bb.17:
	v_mov_b32_e32 v16, 0
	ds_read_b128 v[0:3], v16
	s_ashr_i32 s7, s6, 31
	ds_read_b128 v[4:7], v16 offset:16
	ds_read_b128 v[8:11], v16 offset:32
	;; [unrolled: 1-line block ×3, first 2 shown]
	s_lshl_b64 s[2:3], s[6:7], 2
	s_add_u32 s0, s0, s2
	s_waitcnt lgkmcnt(3)
	v_add_f32_e32 v0, 0, v0
	v_add_f32_e32 v0, v0, v1
	;; [unrolled: 1-line block ×4, first 2 shown]
	s_addc_u32 s1, s1, s3
	global_store_dword v16, v0, s[0:1]
	s_waitcnt lgkmcnt(2)
	v_add_f32_e32 v0, 0, v4
	v_add_f32_e32 v0, v0, v5
	;; [unrolled: 1-line block ×4, first 2 shown]
	global_store_dword v16, v0, s[0:1] offset:1024
	s_waitcnt lgkmcnt(1)
	v_add_f32_e32 v0, 0, v8
	v_add_f32_e32 v0, v0, v9
	;; [unrolled: 1-line block ×4, first 2 shown]
	global_store_dword v16, v0, s[0:1] offset:2048
	s_waitcnt lgkmcnt(0)
	v_add_f32_e32 v0, 0, v12
	v_add_f32_e32 v4, v0, v13
	ds_read_b128 v[0:3], v16 offset:64
	v_add_f32_e32 v4, v4, v14
	v_add_f32_e32 v4, v4, v15
	global_store_dword v16, v4, s[0:1] offset:3072
	ds_read_b128 v[4:7], v16 offset:80
	s_waitcnt lgkmcnt(1)
	v_add_f32_e32 v0, 0, v0
	v_add_f32_e32 v0, v0, v1
	;; [unrolled: 1-line block ×4, first 2 shown]
	v_mov_b32_e32 v8, 0x1000
	global_store_dword v8, v0, s[0:1]
	ds_read_b128 v[0:3], v16 offset:96
	s_waitcnt lgkmcnt(1)
	v_add_f32_e32 v4, 0, v4
	v_add_f32_e32 v4, v4, v5
	;; [unrolled: 1-line block ×4, first 2 shown]
	s_waitcnt lgkmcnt(0)
	v_add_f32_e32 v0, 0, v0
	v_add_f32_e32 v0, v0, v1
	;; [unrolled: 1-line block ×4, first 2 shown]
	global_store_dword v8, v4, s[0:1] offset:1024
	global_store_dword v8, v0, s[0:1] offset:2048
.LBB38_18:
	s_endpgm
	.section	.rodata,"a",@progbits
	.p2align	6, 0x0
	.amdhsa_kernel _Z23fp32_router_gemm_kernelI14__hip_bfloat16Li128ELi7ELi256ELi3072EEvPfPKT_PKf
		.amdhsa_group_segment_fixed_size 112
		.amdhsa_private_segment_fixed_size 0
		.amdhsa_kernarg_size 24
		.amdhsa_user_sgpr_count 6
		.amdhsa_user_sgpr_private_segment_buffer 1
		.amdhsa_user_sgpr_dispatch_ptr 0
		.amdhsa_user_sgpr_queue_ptr 0
		.amdhsa_user_sgpr_kernarg_segment_ptr 1
		.amdhsa_user_sgpr_dispatch_id 0
		.amdhsa_user_sgpr_flat_scratch_init 0
		.amdhsa_user_sgpr_kernarg_preload_length 0
		.amdhsa_user_sgpr_kernarg_preload_offset 0
		.amdhsa_user_sgpr_private_segment_size 0
		.amdhsa_uses_dynamic_stack 0
		.amdhsa_system_sgpr_private_segment_wavefront_offset 0
		.amdhsa_system_sgpr_workgroup_id_x 1
		.amdhsa_system_sgpr_workgroup_id_y 0
		.amdhsa_system_sgpr_workgroup_id_z 0
		.amdhsa_system_sgpr_workgroup_info 0
		.amdhsa_system_vgpr_workitem_id 0
		.amdhsa_next_free_vgpr 79
		.amdhsa_next_free_sgpr 15
		.amdhsa_accum_offset 80
		.amdhsa_reserve_vcc 1
		.amdhsa_reserve_flat_scratch 0
		.amdhsa_float_round_mode_32 0
		.amdhsa_float_round_mode_16_64 0
		.amdhsa_float_denorm_mode_32 3
		.amdhsa_float_denorm_mode_16_64 3
		.amdhsa_dx10_clamp 1
		.amdhsa_ieee_mode 1
		.amdhsa_fp16_overflow 0
		.amdhsa_tg_split 0
		.amdhsa_exception_fp_ieee_invalid_op 0
		.amdhsa_exception_fp_denorm_src 0
		.amdhsa_exception_fp_ieee_div_zero 0
		.amdhsa_exception_fp_ieee_overflow 0
		.amdhsa_exception_fp_ieee_underflow 0
		.amdhsa_exception_fp_ieee_inexact 0
		.amdhsa_exception_int_div_zero 0
	.end_amdhsa_kernel
	.section	.text._Z23fp32_router_gemm_kernelI14__hip_bfloat16Li128ELi7ELi256ELi3072EEvPfPKT_PKf,"axG",@progbits,_Z23fp32_router_gemm_kernelI14__hip_bfloat16Li128ELi7ELi256ELi3072EEvPfPKT_PKf,comdat
.Lfunc_end38:
	.size	_Z23fp32_router_gemm_kernelI14__hip_bfloat16Li128ELi7ELi256ELi3072EEvPfPKT_PKf, .Lfunc_end38-_Z23fp32_router_gemm_kernelI14__hip_bfloat16Li128ELi7ELi256ELi3072EEvPfPKT_PKf
                                        ; -- End function
	.section	.AMDGPU.csdata,"",@progbits
; Kernel info:
; codeLenInByte = 2248
; NumSgprs: 19
; NumVgprs: 79
; NumAgprs: 0
; TotalNumVgprs: 79
; ScratchSize: 0
; MemoryBound: 0
; FloatMode: 240
; IeeeMode: 1
; LDSByteSize: 112 bytes/workgroup (compile time only)
; SGPRBlocks: 2
; VGPRBlocks: 9
; NumSGPRsForWavesPerEU: 19
; NumVGPRsForWavesPerEU: 79
; AccumOffset: 80
; Occupancy: 6
; WaveLimiterHint : 1
; COMPUTE_PGM_RSRC2:SCRATCH_EN: 0
; COMPUTE_PGM_RSRC2:USER_SGPR: 6
; COMPUTE_PGM_RSRC2:TRAP_HANDLER: 0
; COMPUTE_PGM_RSRC2:TGID_X_EN: 1
; COMPUTE_PGM_RSRC2:TGID_Y_EN: 0
; COMPUTE_PGM_RSRC2:TGID_Z_EN: 0
; COMPUTE_PGM_RSRC2:TIDIG_COMP_CNT: 0
; COMPUTE_PGM_RSRC3_GFX90A:ACCUM_OFFSET: 19
; COMPUTE_PGM_RSRC3_GFX90A:TG_SPLIT: 0
	.section	.text._Z23fp32_router_gemm_kernelI14__hip_bfloat16Li128ELi8ELi256ELi3072EEvPfPKT_PKf,"axG",@progbits,_Z23fp32_router_gemm_kernelI14__hip_bfloat16Li128ELi8ELi256ELi3072EEvPfPKT_PKf,comdat
	.protected	_Z23fp32_router_gemm_kernelI14__hip_bfloat16Li128ELi8ELi256ELi3072EEvPfPKT_PKf ; -- Begin function _Z23fp32_router_gemm_kernelI14__hip_bfloat16Li128ELi8ELi256ELi3072EEvPfPKT_PKf
	.globl	_Z23fp32_router_gemm_kernelI14__hip_bfloat16Li128ELi8ELi256ELi3072EEvPfPKT_PKf
	.p2align	8
	.type	_Z23fp32_router_gemm_kernelI14__hip_bfloat16Li128ELi8ELi256ELi3072EEvPfPKT_PKf,@function
_Z23fp32_router_gemm_kernelI14__hip_bfloat16Li128ELi8ELi256ELi3072EEvPfPKT_PKf: ; @_Z23fp32_router_gemm_kernelI14__hip_bfloat16Li128ELi8ELi256ELi3072EEvPfPKT_PKf
; %bb.0:
	s_load_dwordx4 s[0:3], s[4:5], 0x0
	s_load_dwordx2 s[8:9], s[4:5], 0x10
	s_mul_i32 s4, s6, 0xc00
	s_ashr_i32 s5, s4, 31
	s_lshl_b64 s[4:5], s[4:5], 2
	v_lshlrev_b32_e32 v2, 3, v0
	s_waitcnt lgkmcnt(0)
	s_add_u32 s4, s8, s4
	v_or_b32_e32 v1, 0x400, v2
	v_or_b32_e32 v4, 0x800, v2
	s_addc_u32 s5, s9, s5
	s_mov_b64 s[8:9], 0
	v_mov_b32_e32 v12, 0
	v_mov_b32_e32 v9, s3
	s_movk_i32 s7, 0x1000
	s_movk_i32 s10, 0x3000
	;; [unrolled: 1-line block ×5, first 2 shown]
	s_mov_b32 s14, 0x9000
	s_mov_b32 s15, 0xa000
	v_mov_b32_e32 v11, 0
	v_mov_b32_e32 v10, 0
	v_mov_b32_e32 v8, 0
	v_mov_b32_e32 v7, 0
	v_mov_b32_e32 v6, 0
	v_mov_b32_e32 v5, 0
	v_mov_b32_e32 v3, 0
.LBB39_1:                               ; =>This Inner Loop Header: Depth=1
	s_cmp_eq_u32 s8, 1
	s_cselect_b64 vcc, -1, 0
	s_cmp_eq_u32 s8, 2
	v_cndmask_b32_e32 v13, v2, v1, vcc
	s_cselect_b64 vcc, -1, 0
	v_cndmask_b32_e32 v13, v13, v4, vcc
	v_lshlrev_b32_e32 v18, 1, v13
	global_load_dwordx4 v[14:17], v18, s[2:3]
	v_add_co_u32_e32 v22, vcc, s2, v18
	v_addc_co_u32_e32 v23, vcc, 0, v9, vcc
	v_add_co_u32_e32 v50, vcc, s7, v22
	v_addc_co_u32_e32 v51, vcc, 0, v23, vcc
	;; [unrolled: 2-line block ×7, first 2 shown]
	v_lshlrev_b32_e32 v13, 2, v13
	v_add_co_u32_e32 v62, vcc, s15, v22
	global_load_dwordx4 v[18:21], v13, s[4:5]
	v_addc_co_u32_e32 v63, vcc, 0, v23, vcc
	global_load_dwordx4 v[22:25], v[50:51], off offset:2048
	global_load_dwordx4 v[26:29], v[52:53], off
	global_load_dwordx4 v[30:33], v[54:55], off offset:2048
	global_load_dwordx4 v[34:37], v[56:57], off
	;; [unrolled: 2-line block ×3, first 2 shown]
	global_load_dwordx4 v[46:49], v[62:63], off offset:2048
	s_add_u32 s8, s8, 1
	s_addc_u32 s9, s9, 0
	s_cmp_eq_u32 s8, 3
	s_waitcnt vmcnt(8)
	v_and_b32_e32 v51, 0xffff0000, v14
	v_lshlrev_b32_e32 v50, 16, v14
	v_and_b32_e32 v53, 0xffff0000, v15
	v_lshlrev_b32_e32 v52, 16, v15
	;; [unrolled: 2-line block ×4, first 2 shown]
	global_load_dwordx4 v[14:17], v13, s[4:5] offset:16
	s_waitcnt vmcnt(7)
	v_and_b32_e32 v59, 0xffff0000, v22
	v_lshlrev_b32_e32 v58, 16, v22
	s_waitcnt vmcnt(6)
	v_and_b32_e32 v61, 0xffff0000, v26
	v_lshlrev_b32_e32 v60, 16, v26
	;; [unrolled: 3-line block ×3, first 2 shown]
	v_and_b32_e32 v65, 0xffff0000, v23
	v_lshlrev_b32_e32 v64, 16, v23
	v_and_b32_e32 v23, 0xffff0000, v27
	v_lshlrev_b32_e32 v22, 16, v27
	;; [unrolled: 2-line block ×9, first 2 shown]
	s_waitcnt vmcnt(4)
	v_and_b32_e32 v33, 0xffff0000, v34
	v_lshlrev_b32_e32 v32, 16, v34
	v_and_b32_e32 v73, 0xffff0000, v35
	v_lshlrev_b32_e32 v72, 16, v35
	v_and_b32_e32 v35, 0xffff0000, v36
	v_lshlrev_b32_e32 v34, 16, v36
	v_and_b32_e32 v75, 0xffff0000, v37
	v_lshlrev_b32_e32 v74, 16, v37
	s_waitcnt vmcnt(3)
	v_and_b32_e32 v37, 0xffff0000, v38
	v_lshlrev_b32_e32 v36, 16, v38
	v_and_b32_e32 v77, 0xffff0000, v39
	v_lshlrev_b32_e32 v76, 16, v39
	v_and_b32_e32 v39, 0xffff0000, v40
	v_lshlrev_b32_e32 v38, 16, v40
	v_and_b32_e32 v79, 0xffff0000, v41
	v_lshlrev_b32_e32 v78, 16, v41
	;; [unrolled: 9-line block ×4, first 2 shown]
	v_pk_mul_f32 v[48:49], v[18:19], v[50:51]
	v_pk_mul_f32 v[50:51], v[20:21], v[52:53]
	v_add_f32_e32 v48, v12, v48
	s_waitcnt vmcnt(0)
	v_pk_mul_f32 v[52:53], v[14:15], v[54:55]
	v_pk_mul_f32 v[54:55], v[16:17], v[56:57]
	;; [unrolled: 1-line block ×9, first 2 shown]
	v_add_f32_e32 v11, v11, v12
	v_add_f32_e32 v10, v10, v56
	v_add_f32_e32 v8, v8, v58
	v_add_f32_e32 v7, v7, v32
	v_add_f32_e32 v6, v6, v36
	v_add_f32_e32 v5, v5, v40
	v_add_f32_e32 v3, v3, v18
	v_pk_mul_f32 v[44:45], v[20:21], v[64:65]
	v_pk_mul_f32 v[22:23], v[20:21], v[22:23]
	v_pk_mul_f32 v[26:27], v[20:21], v[26:27]
	v_pk_mul_f32 v[60:61], v[20:21], v[72:73]
	v_pk_mul_f32 v[62:63], v[20:21], v[76:77]
	v_pk_mul_f32 v[64:65], v[20:21], v[80:81]
	v_pk_mul_f32 v[20:21], v[20:21], v[84:85]
	v_add_f32_e32 v48, v48, v49
	v_add_f32_e32 v11, v11, v13
	v_add_f32_e32 v10, v10, v57
	v_add_f32_e32 v8, v8, v59
	v_add_f32_e32 v7, v7, v33
	v_add_f32_e32 v6, v6, v37
	v_add_f32_e32 v5, v5, v41
	v_add_f32_e32 v3, v3, v19
	v_add_f32_e32 v48, v48, v50
	v_add_f32_e32 v11, v11, v44
	v_add_f32_e32 v10, v10, v22
	v_add_f32_e32 v8, v8, v26
	v_add_f32_e32 v7, v7, v60
	v_add_f32_e32 v6, v6, v62
	v_add_f32_e32 v5, v5, v64
	v_add_f32_e32 v3, v3, v20
	v_pk_mul_f32 v[30:31], v[14:15], v[30:31]
	v_pk_mul_f32 v[24:25], v[14:15], v[24:25]
	v_pk_mul_f32 v[28:29], v[14:15], v[28:29]
	v_pk_mul_f32 v[34:35], v[14:15], v[34:35]
	v_pk_mul_f32 v[38:39], v[14:15], v[38:39]
	v_pk_mul_f32 v[42:43], v[14:15], v[42:43]
	v_pk_mul_f32 v[14:15], v[14:15], v[46:47]
	v_add_f32_e32 v12, v48, v51
	v_add_f32_e32 v11, v11, v45
	v_add_f32_e32 v10, v10, v23
	v_add_f32_e32 v8, v8, v27
	v_add_f32_e32 v7, v7, v61
	v_add_f32_e32 v6, v6, v63
	v_add_f32_e32 v5, v5, v65
	v_add_f32_e32 v3, v3, v21
	v_add_f32_e32 v12, v12, v52
	;; [unrolled: 23-line block ×3, first 2 shown]
	v_add_f32_e32 v11, v11, v46
	v_add_f32_e32 v10, v10, v66
	;; [unrolled: 1-line block ×15, first 2 shown]
	s_cbranch_scc0 .LBB39_1
; %bb.2:
	v_mbcnt_lo_u32_b32 v1, -1, 0
	v_mbcnt_hi_u32_b32 v13, -1, v1
	v_and_b32_e32 v2, 64, v13
	v_xor_b32_e32 v1, 16, v13
	v_add_u32_e32 v14, 64, v2
	v_cmp_lt_i32_e32 vcc, v1, v14
	v_cndmask_b32_e32 v1, v13, v1, vcc
	v_lshlrev_b32_e32 v1, 2, v1
	ds_bpermute_b32 v4, v1, v12
	v_xor_b32_e32 v2, 8, v13
	v_cmp_lt_i32_e32 vcc, v2, v14
	v_cndmask_b32_e32 v2, v13, v2, vcc
	v_lshlrev_b32_e32 v2, 2, v2
	s_waitcnt lgkmcnt(0)
	v_add_f32_e32 v9, v12, v4
	ds_bpermute_b32 v12, v2, v9
	v_xor_b32_e32 v4, 4, v13
	v_cmp_lt_i32_e32 vcc, v4, v14
	v_cndmask_b32_e32 v4, v13, v4, vcc
	v_lshlrev_b32_e32 v4, 2, v4
	s_waitcnt lgkmcnt(0)
	v_add_f32_e32 v12, v9, v12
	;; [unrolled: 7-line block ×4, first 2 shown]
	ds_bpermute_b32 v15, v13, v14
	v_lshrrev_b32_e32 v12, 5, v0
	v_and_b32_e32 v16, 31, v0
	v_cmp_eq_u32_e32 vcc, 0, v16
	v_lshlrev_b32_e32 v12, 2, v12
	s_and_saveexec_b64 s[2:3], vcc
	s_cbranch_execz .LBB39_4
; %bb.3:
	s_waitcnt lgkmcnt(0)
	v_add_f32_e32 v14, v14, v15
	ds_write_b32 v12, v14
.LBB39_4:
	s_or_b64 exec, exec, s[2:3]
	ds_bpermute_b32 v14, v1, v11
	s_waitcnt lgkmcnt(0)
	v_add_f32_e32 v11, v11, v14
	ds_bpermute_b32 v14, v2, v11
	s_waitcnt lgkmcnt(0)
	v_add_f32_e32 v11, v11, v14
	ds_bpermute_b32 v14, v4, v11
	s_waitcnt lgkmcnt(0)
	v_add_f32_e32 v11, v11, v14
	ds_bpermute_b32 v14, v9, v11
	s_waitcnt lgkmcnt(0)
	v_add_f32_e32 v11, v11, v14
	ds_bpermute_b32 v14, v13, v11
	s_and_saveexec_b64 s[2:3], vcc
	s_cbranch_execz .LBB39_6
; %bb.5:
	s_waitcnt lgkmcnt(0)
	v_add_f32_e32 v11, v11, v14
	ds_write_b32 v12, v11 offset:16
.LBB39_6:
	s_or_b64 exec, exec, s[2:3]
	ds_bpermute_b32 v11, v1, v10
	s_waitcnt lgkmcnt(0)
	v_add_f32_e32 v10, v10, v11
	ds_bpermute_b32 v11, v2, v10
	s_waitcnt lgkmcnt(0)
	v_add_f32_e32 v10, v10, v11
	ds_bpermute_b32 v11, v4, v10
	s_waitcnt lgkmcnt(0)
	v_add_f32_e32 v10, v10, v11
	ds_bpermute_b32 v11, v9, v10
	s_waitcnt lgkmcnt(0)
	v_add_f32_e32 v10, v10, v11
	ds_bpermute_b32 v11, v13, v10
	s_and_saveexec_b64 s[2:3], vcc
	s_cbranch_execz .LBB39_8
; %bb.7:
	s_waitcnt lgkmcnt(0)
	v_add_f32_e32 v10, v10, v11
	ds_write_b32 v12, v10 offset:32
.LBB39_8:
	;; [unrolled: 21-line block ×7, first 2 shown]
	s_or_b64 exec, exec, s[2:3]
	v_cmp_eq_u32_e32 vcc, 0, v0
	s_waitcnt lgkmcnt(0)
	s_barrier
	s_and_saveexec_b64 s[2:3], vcc
	s_cbranch_execz .LBB39_20
; %bb.19:
	v_mov_b32_e32 v16, 0
	ds_read_b128 v[0:3], v16
	s_ashr_i32 s7, s6, 31
	ds_read_b128 v[4:7], v16 offset:16
	ds_read_b128 v[8:11], v16 offset:32
	;; [unrolled: 1-line block ×3, first 2 shown]
	s_lshl_b64 s[2:3], s[6:7], 2
	s_add_u32 s0, s0, s2
	s_waitcnt lgkmcnt(3)
	v_add_f32_e32 v0, 0, v0
	v_add_f32_e32 v0, v0, v1
	;; [unrolled: 1-line block ×4, first 2 shown]
	s_addc_u32 s1, s1, s3
	global_store_dword v16, v0, s[0:1]
	s_waitcnt lgkmcnt(2)
	v_add_f32_e32 v0, 0, v4
	v_add_f32_e32 v0, v0, v5
	;; [unrolled: 1-line block ×4, first 2 shown]
	global_store_dword v16, v0, s[0:1] offset:1024
	s_waitcnt lgkmcnt(1)
	v_add_f32_e32 v0, 0, v8
	v_add_f32_e32 v0, v0, v9
	;; [unrolled: 1-line block ×4, first 2 shown]
	global_store_dword v16, v0, s[0:1] offset:2048
	s_waitcnt lgkmcnt(0)
	v_add_f32_e32 v0, 0, v12
	v_add_f32_e32 v4, v0, v13
	ds_read_b128 v[0:3], v16 offset:64
	v_add_f32_e32 v4, v4, v14
	v_add_f32_e32 v4, v4, v15
	global_store_dword v16, v4, s[0:1] offset:3072
	ds_read_b128 v[4:7], v16 offset:80
	s_waitcnt lgkmcnt(1)
	v_add_f32_e32 v0, 0, v0
	v_add_f32_e32 v0, v0, v1
	v_add_f32_e32 v0, v0, v2
	v_add_f32_e32 v0, v0, v3
	v_mov_b32_e32 v8, 0x1000
	global_store_dword v8, v0, s[0:1]
	s_waitcnt lgkmcnt(0)
	v_add_f32_e32 v0, 0, v4
	v_add_f32_e32 v4, v0, v5
	ds_read_b128 v[0:3], v16 offset:96
	v_add_f32_e32 v4, v4, v6
	v_add_f32_e32 v4, v4, v7
	global_store_dword v8, v4, s[0:1] offset:1024
	ds_read_b128 v[4:7], v16 offset:112
	s_waitcnt lgkmcnt(1)
	v_add_f32_e32 v0, 0, v0
	v_add_f32_e32 v0, v0, v1
	;; [unrolled: 1-line block ×4, first 2 shown]
	global_store_dword v8, v0, s[0:1] offset:2048
	s_waitcnt lgkmcnt(0)
	v_add_f32_e32 v0, 0, v4
	v_add_f32_e32 v0, v0, v5
	;; [unrolled: 1-line block ×4, first 2 shown]
	global_store_dword v8, v0, s[0:1] offset:3072
.LBB39_20:
	s_endpgm
	.section	.rodata,"a",@progbits
	.p2align	6, 0x0
	.amdhsa_kernel _Z23fp32_router_gemm_kernelI14__hip_bfloat16Li128ELi8ELi256ELi3072EEvPfPKT_PKf
		.amdhsa_group_segment_fixed_size 128
		.amdhsa_private_segment_fixed_size 0
		.amdhsa_kernarg_size 24
		.amdhsa_user_sgpr_count 6
		.amdhsa_user_sgpr_private_segment_buffer 1
		.amdhsa_user_sgpr_dispatch_ptr 0
		.amdhsa_user_sgpr_queue_ptr 0
		.amdhsa_user_sgpr_kernarg_segment_ptr 1
		.amdhsa_user_sgpr_dispatch_id 0
		.amdhsa_user_sgpr_flat_scratch_init 0
		.amdhsa_user_sgpr_kernarg_preload_length 0
		.amdhsa_user_sgpr_kernarg_preload_offset 0
		.amdhsa_user_sgpr_private_segment_size 0
		.amdhsa_uses_dynamic_stack 0
		.amdhsa_system_sgpr_private_segment_wavefront_offset 0
		.amdhsa_system_sgpr_workgroup_id_x 1
		.amdhsa_system_sgpr_workgroup_id_y 0
		.amdhsa_system_sgpr_workgroup_id_z 0
		.amdhsa_system_sgpr_workgroup_info 0
		.amdhsa_system_vgpr_workitem_id 0
		.amdhsa_next_free_vgpr 88
		.amdhsa_next_free_sgpr 16
		.amdhsa_accum_offset 88
		.amdhsa_reserve_vcc 1
		.amdhsa_reserve_flat_scratch 0
		.amdhsa_float_round_mode_32 0
		.amdhsa_float_round_mode_16_64 0
		.amdhsa_float_denorm_mode_32 3
		.amdhsa_float_denorm_mode_16_64 3
		.amdhsa_dx10_clamp 1
		.amdhsa_ieee_mode 1
		.amdhsa_fp16_overflow 0
		.amdhsa_tg_split 0
		.amdhsa_exception_fp_ieee_invalid_op 0
		.amdhsa_exception_fp_denorm_src 0
		.amdhsa_exception_fp_ieee_div_zero 0
		.amdhsa_exception_fp_ieee_overflow 0
		.amdhsa_exception_fp_ieee_underflow 0
		.amdhsa_exception_fp_ieee_inexact 0
		.amdhsa_exception_int_div_zero 0
	.end_amdhsa_kernel
	.section	.text._Z23fp32_router_gemm_kernelI14__hip_bfloat16Li128ELi8ELi256ELi3072EEvPfPKT_PKf,"axG",@progbits,_Z23fp32_router_gemm_kernelI14__hip_bfloat16Li128ELi8ELi256ELi3072EEvPfPKT_PKf,comdat
.Lfunc_end39:
	.size	_Z23fp32_router_gemm_kernelI14__hip_bfloat16Li128ELi8ELi256ELi3072EEvPfPKT_PKf, .Lfunc_end39-_Z23fp32_router_gemm_kernelI14__hip_bfloat16Li128ELi8ELi256ELi3072EEvPfPKT_PKf
                                        ; -- End function
	.section	.AMDGPU.csdata,"",@progbits
; Kernel info:
; codeLenInByte = 2524
; NumSgprs: 20
; NumVgprs: 88
; NumAgprs: 0
; TotalNumVgprs: 88
; ScratchSize: 0
; MemoryBound: 0
; FloatMode: 240
; IeeeMode: 1
; LDSByteSize: 128 bytes/workgroup (compile time only)
; SGPRBlocks: 2
; VGPRBlocks: 10
; NumSGPRsForWavesPerEU: 20
; NumVGPRsForWavesPerEU: 88
; AccumOffset: 88
; Occupancy: 5
; WaveLimiterHint : 1
; COMPUTE_PGM_RSRC2:SCRATCH_EN: 0
; COMPUTE_PGM_RSRC2:USER_SGPR: 6
; COMPUTE_PGM_RSRC2:TRAP_HANDLER: 0
; COMPUTE_PGM_RSRC2:TGID_X_EN: 1
; COMPUTE_PGM_RSRC2:TGID_Y_EN: 0
; COMPUTE_PGM_RSRC2:TGID_Z_EN: 0
; COMPUTE_PGM_RSRC2:TIDIG_COMP_CNT: 0
; COMPUTE_PGM_RSRC3_GFX90A:ACCUM_OFFSET: 21
; COMPUTE_PGM_RSRC3_GFX90A:TG_SPLIT: 0
	.section	.text._Z23fp32_router_gemm_kernelI14__hip_bfloat16Li128ELi9ELi256ELi3072EEvPfPKT_PKf,"axG",@progbits,_Z23fp32_router_gemm_kernelI14__hip_bfloat16Li128ELi9ELi256ELi3072EEvPfPKT_PKf,comdat
	.protected	_Z23fp32_router_gemm_kernelI14__hip_bfloat16Li128ELi9ELi256ELi3072EEvPfPKT_PKf ; -- Begin function _Z23fp32_router_gemm_kernelI14__hip_bfloat16Li128ELi9ELi256ELi3072EEvPfPKT_PKf
	.globl	_Z23fp32_router_gemm_kernelI14__hip_bfloat16Li128ELi9ELi256ELi3072EEvPfPKT_PKf
	.p2align	8
	.type	_Z23fp32_router_gemm_kernelI14__hip_bfloat16Li128ELi9ELi256ELi3072EEvPfPKT_PKf,@function
_Z23fp32_router_gemm_kernelI14__hip_bfloat16Li128ELi9ELi256ELi3072EEvPfPKT_PKf: ; @_Z23fp32_router_gemm_kernelI14__hip_bfloat16Li128ELi9ELi256ELi3072EEvPfPKT_PKf
; %bb.0:
	s_load_dwordx4 s[0:3], s[4:5], 0x0
	s_load_dwordx2 s[8:9], s[4:5], 0x10
	s_mul_i32 s4, s6, 0xc00
	s_ashr_i32 s5, s4, 31
	s_lshl_b64 s[4:5], s[4:5], 2
	v_lshlrev_b32_e32 v6, 3, v0
	s_waitcnt lgkmcnt(0)
	s_add_u32 s4, s8, s4
	v_or_b32_e32 v1, 0x400, v6
	v_or_b32_e32 v8, 0x800, v6
	s_addc_u32 s5, s9, s5
	s_mov_b64 s[8:9], 0
	v_mov_b32_e32 v19, 0
	v_mov_b32_e32 v16, s3
	s_movk_i32 s7, 0x1000
	s_movk_i32 s10, 0x3000
	;; [unrolled: 1-line block ×5, first 2 shown]
	s_mov_b32 s14, 0x9000
	s_mov_b32 s15, 0xa000
	;; [unrolled: 1-line block ×3, first 2 shown]
	v_mov_b32_e32 v18, 0
	v_mov_b32_e32 v17, 0
	;; [unrolled: 1-line block ×8, first 2 shown]
.LBB40_1:                               ; =>This Inner Loop Header: Depth=1
	s_cmp_eq_u32 s8, 1
	s_cselect_b64 vcc, -1, 0
	s_cmp_eq_u32 s8, 2
	v_cndmask_b32_e32 v2, v6, v1, vcc
	s_cselect_b64 vcc, -1, 0
	v_cndmask_b32_e32 v96, v2, v8, vcc
	v_lshlrev_b32_e32 v10, 1, v96
	v_add_co_u32_e32 v20, vcc, s2, v10
	v_addc_co_u32_e32 v21, vcc, 0, v16, vcc
	global_load_dwordx4 v[2:5], v10, s[2:3]
	v_add_co_u32_e32 v10, vcc, s7, v20
	v_addc_co_u32_e32 v11, vcc, 0, v21, vcc
	v_add_co_u32_e32 v52, vcc, s10, v20
	v_addc_co_u32_e32 v53, vcc, 0, v21, vcc
	;; [unrolled: 2-line block ×8, first 2 shown]
	global_load_dwordx4 v[20:23], v[10:11], off offset:2048
	global_load_dwordx4 v[24:27], v[52:53], off
	global_load_dwordx4 v[28:31], v[54:55], off offset:2048
	global_load_dwordx4 v[32:35], v[56:57], off
	;; [unrolled: 2-line block ×4, first 2 shown]
	s_add_u32 s8, s8, 1
	s_addc_u32 s9, s9, 0
	s_cmp_eq_u32 s8, 3
	s_waitcnt vmcnt(8)
	v_and_b32_e32 v11, 0xffff0000, v2
	v_lshlrev_b32_e32 v10, 16, v2
	v_and_b32_e32 v53, 0xffff0000, v3
	v_lshlrev_b32_e32 v52, 16, v3
	;; [unrolled: 2-line block ×4, first 2 shown]
	s_waitcnt vmcnt(7)
	v_and_b32_e32 v59, 0xffff0000, v20
	s_waitcnt vmcnt(6)
	v_and_b32_e32 v71, 0xffff0000, v26
	v_lshlrev_b32_e32 v70, 16, v26
	v_and_b32_e32 v73, 0xffff0000, v27
	v_lshlrev_b32_e32 v72, 16, v27
	s_waitcnt vmcnt(5)
	v_and_b32_e32 v27, 0xffff0000, v30
	v_lshlrev_b32_e32 v26, 16, v30
	v_and_b32_e32 v75, 0xffff0000, v31
	v_lshlrev_b32_e32 v74, 16, v31
	;; [unrolled: 5-line block ×3, first 2 shown]
	v_and_b32_e32 v33, 0xffff0000, v34
	v_lshlrev_b32_e32 v32, 16, v34
	v_and_b32_e32 v79, 0xffff0000, v35
	v_lshlrev_b32_e32 v78, 16, v35
	s_waitcnt vmcnt(3)
	v_and_b32_e32 v35, 0xffff0000, v36
	v_lshlrev_b32_e32 v34, 16, v36
	v_and_b32_e32 v81, 0xffff0000, v37
	v_lshlrev_b32_e32 v80, 16, v37
	v_and_b32_e32 v37, 0xffff0000, v38
	v_lshlrev_b32_e32 v36, 16, v38
	v_and_b32_e32 v83, 0xffff0000, v39
	v_lshlrev_b32_e32 v82, 16, v39
	s_waitcnt vmcnt(2)
	v_and_b32_e32 v39, 0xffff0000, v40
	v_lshlrev_b32_e32 v38, 16, v40
	v_and_b32_e32 v85, 0xffff0000, v41
	v_lshlrev_b32_e32 v84, 16, v41
	;; [unrolled: 9-line block ×4, first 2 shown]
	v_and_b32_e32 v49, 0xffff0000, v50
	v_lshlrev_b32_e32 v48, 16, v50
	v_lshlrev_b32_e32 v50, 2, v96
	;; [unrolled: 1-line block ×3, first 2 shown]
	v_and_b32_e32 v61, 0xffff0000, v24
	v_lshlrev_b32_e32 v60, 16, v24
	v_and_b32_e32 v63, 0xffff0000, v28
	v_lshlrev_b32_e32 v62, 16, v28
	v_and_b32_e32 v65, 0xffff0000, v21
	v_lshlrev_b32_e32 v64, 16, v21
	v_and_b32_e32 v67, 0xffff0000, v25
	v_lshlrev_b32_e32 v66, 16, v25
	v_and_b32_e32 v25, 0xffff0000, v29
	v_lshlrev_b32_e32 v24, 16, v29
	v_and_b32_e32 v29, 0xffff0000, v22
	v_lshlrev_b32_e32 v28, 16, v22
	v_and_b32_e32 v69, 0xffff0000, v23
	v_lshlrev_b32_e32 v68, 16, v23
	global_load_dwordx4 v[2:5], v50, s[4:5]
	global_load_dwordx4 v[20:23], v50, s[4:5] offset:16
	v_and_b32_e32 v95, 0xffff0000, v51
	v_lshlrev_b32_e32 v94, 16, v51
	s_waitcnt vmcnt(1)
	v_pk_mul_f32 v[10:11], v[2:3], v[10:11]
	v_add_f32_e32 v10, v19, v10
	v_pk_mul_f32 v[50:51], v[4:5], v[52:53]
	v_pk_mul_f32 v[52:53], v[2:3], v[58:59]
	;; [unrolled: 1-line block ×9, first 2 shown]
	v_add_f32_e32 v10, v10, v11
	v_add_f32_e32 v10, v10, v50
	;; [unrolled: 1-line block ×10, first 2 shown]
	v_pk_mul_f32 v[46:47], v[4:5], v[64:65]
	v_pk_mul_f32 v[62:63], v[4:5], v[66:67]
	;; [unrolled: 1-line block ×8, first 2 shown]
	s_waitcnt vmcnt(0)
	v_pk_mul_f32 v[54:55], v[20:21], v[54:55]
	v_add_f32_e32 v7, v10, v51
	v_add_f32_e32 v10, v11, v53
	;; [unrolled: 1-line block ×18, first 2 shown]
	v_pk_mul_f32 v[56:57], v[22:23], v[56:57]
	v_pk_mul_f32 v[28:29], v[20:21], v[28:29]
	;; [unrolled: 1-line block ×9, first 2 shown]
	v_add_f32_e32 v3, v3, v55
	v_add_f32_e32 v4, v7, v47
	;; [unrolled: 1-line block ×18, first 2 shown]
	v_pk_mul_f32 v[48:49], v[22:23], v[68:69]
	v_pk_mul_f32 v[68:69], v[22:23], v[72:73]
	v_pk_mul_f32 v[72:73], v[22:23], v[74:75]
	v_pk_mul_f32 v[74:75], v[22:23], v[78:79]
	v_pk_mul_f32 v[78:79], v[22:23], v[82:83]
	v_pk_mul_f32 v[82:83], v[22:23], v[86:87]
	v_pk_mul_f32 v[84:85], v[22:23], v[90:91]
	v_pk_mul_f32 v[22:23], v[22:23], v[94:95]
	v_add_f32_e32 v19, v3, v57
	v_add_f32_e32 v3, v4, v29
	;; [unrolled: 1-line block ×25, first 2 shown]
	s_cbranch_scc0 .LBB40_1
; %bb.2:
	v_mbcnt_lo_u32_b32 v1, -1, 0
	v_mbcnt_hi_u32_b32 v5, -1, v1
	v_and_b32_e32 v2, 64, v5
	v_xor_b32_e32 v1, 16, v5
	v_add_u32_e32 v6, 64, v2
	v_cmp_lt_i32_e32 vcc, v1, v6
	v_cndmask_b32_e32 v1, v5, v1, vcc
	v_lshlrev_b32_e32 v1, 2, v1
	ds_bpermute_b32 v3, v1, v19
	v_xor_b32_e32 v2, 8, v5
	v_cmp_lt_i32_e32 vcc, v2, v6
	v_cndmask_b32_e32 v2, v5, v2, vcc
	v_lshlrev_b32_e32 v2, 2, v2
	s_waitcnt lgkmcnt(0)
	v_add_f32_e32 v4, v19, v3
	ds_bpermute_b32 v8, v2, v4
	v_xor_b32_e32 v3, 4, v5
	v_cmp_lt_i32_e32 vcc, v3, v6
	v_cndmask_b32_e32 v3, v5, v3, vcc
	v_lshlrev_b32_e32 v3, 2, v3
	s_waitcnt lgkmcnt(0)
	v_add_f32_e32 v8, v4, v8
	;; [unrolled: 7-line block ×4, first 2 shown]
	ds_bpermute_b32 v10, v6, v8
	v_lshrrev_b32_e32 v5, 5, v0
	v_and_b32_e32 v11, 31, v0
	v_cmp_eq_u32_e32 vcc, 0, v11
	v_lshlrev_b32_e32 v5, 2, v5
	s_and_saveexec_b64 s[2:3], vcc
	s_cbranch_execz .LBB40_4
; %bb.3:
	s_waitcnt lgkmcnt(0)
	v_add_f32_e32 v8, v8, v10
	ds_write_b32 v5, v8
.LBB40_4:
	s_or_b64 exec, exec, s[2:3]
	ds_bpermute_b32 v8, v1, v18
	s_waitcnt lgkmcnt(0)
	v_add_f32_e32 v8, v18, v8
	ds_bpermute_b32 v10, v2, v8
	s_waitcnt lgkmcnt(0)
	v_add_f32_e32 v8, v8, v10
	ds_bpermute_b32 v10, v3, v8
	s_waitcnt lgkmcnt(0)
	v_add_f32_e32 v8, v8, v10
	ds_bpermute_b32 v10, v4, v8
	s_waitcnt lgkmcnt(0)
	v_add_f32_e32 v8, v8, v10
	ds_bpermute_b32 v10, v6, v8
	s_and_saveexec_b64 s[2:3], vcc
	s_cbranch_execz .LBB40_6
; %bb.5:
	s_waitcnt lgkmcnt(0)
	v_add_f32_e32 v8, v8, v10
	ds_write_b32 v5, v8 offset:16
.LBB40_6:
	s_or_b64 exec, exec, s[2:3]
	ds_bpermute_b32 v8, v1, v17
	s_waitcnt lgkmcnt(0)
	v_add_f32_e32 v8, v17, v8
	ds_bpermute_b32 v10, v2, v8
	s_waitcnt lgkmcnt(0)
	v_add_f32_e32 v8, v8, v10
	ds_bpermute_b32 v10, v3, v8
	s_waitcnt lgkmcnt(0)
	v_add_f32_e32 v8, v8, v10
	ds_bpermute_b32 v10, v4, v8
	s_waitcnt lgkmcnt(0)
	v_add_f32_e32 v8, v8, v10
	ds_bpermute_b32 v10, v6, v8
	s_and_saveexec_b64 s[2:3], vcc
	s_cbranch_execz .LBB40_8
; %bb.7:
	s_waitcnt lgkmcnt(0)
	v_add_f32_e32 v8, v8, v10
	ds_write_b32 v5, v8 offset:32
.LBB40_8:
	;; [unrolled: 21-line block ×8, first 2 shown]
	s_or_b64 exec, exec, s[2:3]
	v_cmp_eq_u32_e32 vcc, 0, v0
	s_waitcnt lgkmcnt(0)
	s_barrier
	s_and_saveexec_b64 s[2:3], vcc
	s_cbranch_execz .LBB40_22
; %bb.21:
	v_mov_b32_e32 v16, 0
	ds_read_b128 v[0:3], v16
	s_ashr_i32 s7, s6, 31
	ds_read_b128 v[4:7], v16 offset:16
	ds_read_b128 v[8:11], v16 offset:32
	;; [unrolled: 1-line block ×3, first 2 shown]
	s_lshl_b64 s[2:3], s[6:7], 2
	s_add_u32 s0, s0, s2
	s_waitcnt lgkmcnt(3)
	v_add_f32_e32 v0, 0, v0
	v_add_f32_e32 v0, v0, v1
	;; [unrolled: 1-line block ×4, first 2 shown]
	s_addc_u32 s1, s1, s3
	global_store_dword v16, v0, s[0:1]
	s_waitcnt lgkmcnt(2)
	v_add_f32_e32 v0, 0, v4
	v_add_f32_e32 v0, v0, v5
	;; [unrolled: 1-line block ×4, first 2 shown]
	global_store_dword v16, v0, s[0:1] offset:1024
	s_waitcnt lgkmcnt(1)
	v_add_f32_e32 v0, 0, v8
	v_add_f32_e32 v0, v0, v9
	;; [unrolled: 1-line block ×4, first 2 shown]
	global_store_dword v16, v0, s[0:1] offset:2048
	s_waitcnt lgkmcnt(0)
	v_add_f32_e32 v0, 0, v12
	v_add_f32_e32 v4, v0, v13
	ds_read_b128 v[0:3], v16 offset:64
	v_add_f32_e32 v4, v4, v14
	v_add_f32_e32 v4, v4, v15
	global_store_dword v16, v4, s[0:1] offset:3072
	ds_read_b128 v[4:7], v16 offset:80
	s_waitcnt lgkmcnt(1)
	v_add_f32_e32 v0, 0, v0
	v_add_f32_e32 v0, v0, v1
	;; [unrolled: 1-line block ×4, first 2 shown]
	v_mov_b32_e32 v8, 0x1000
	global_store_dword v8, v0, s[0:1]
	s_waitcnt lgkmcnt(0)
	v_add_f32_e32 v0, 0, v4
	v_add_f32_e32 v4, v0, v5
	ds_read_b128 v[0:3], v16 offset:96
	v_add_f32_e32 v4, v4, v6
	v_add_f32_e32 v4, v4, v7
	global_store_dword v8, v4, s[0:1] offset:1024
	ds_read_b128 v[4:7], v16 offset:112
	s_waitcnt lgkmcnt(1)
	v_add_f32_e32 v0, 0, v0
	v_add_f32_e32 v0, v0, v1
	;; [unrolled: 1-line block ×4, first 2 shown]
	global_store_dword v8, v0, s[0:1] offset:2048
	ds_read_b128 v[0:3], v16 offset:128
	s_waitcnt lgkmcnt(1)
	v_add_f32_e32 v4, 0, v4
	v_add_f32_e32 v4, v4, v5
	;; [unrolled: 1-line block ×4, first 2 shown]
	s_waitcnt lgkmcnt(0)
	v_add_f32_e32 v0, 0, v0
	v_add_f32_e32 v0, v0, v1
	;; [unrolled: 1-line block ×4, first 2 shown]
	v_mov_b32_e32 v1, 0x2000
	global_store_dword v8, v4, s[0:1] offset:3072
	global_store_dword v1, v0, s[0:1]
.LBB40_22:
	s_endpgm
	.section	.rodata,"a",@progbits
	.p2align	6, 0x0
	.amdhsa_kernel _Z23fp32_router_gemm_kernelI14__hip_bfloat16Li128ELi9ELi256ELi3072EEvPfPKT_PKf
		.amdhsa_group_segment_fixed_size 144
		.amdhsa_private_segment_fixed_size 0
		.amdhsa_kernarg_size 24
		.amdhsa_user_sgpr_count 6
		.amdhsa_user_sgpr_private_segment_buffer 1
		.amdhsa_user_sgpr_dispatch_ptr 0
		.amdhsa_user_sgpr_queue_ptr 0
		.amdhsa_user_sgpr_kernarg_segment_ptr 1
		.amdhsa_user_sgpr_dispatch_id 0
		.amdhsa_user_sgpr_flat_scratch_init 0
		.amdhsa_user_sgpr_kernarg_preload_length 0
		.amdhsa_user_sgpr_kernarg_preload_offset 0
		.amdhsa_user_sgpr_private_segment_size 0
		.amdhsa_uses_dynamic_stack 0
		.amdhsa_system_sgpr_private_segment_wavefront_offset 0
		.amdhsa_system_sgpr_workgroup_id_x 1
		.amdhsa_system_sgpr_workgroup_id_y 0
		.amdhsa_system_sgpr_workgroup_id_z 0
		.amdhsa_system_sgpr_workgroup_info 0
		.amdhsa_system_vgpr_workitem_id 0
		.amdhsa_next_free_vgpr 97
		.amdhsa_next_free_sgpr 17
		.amdhsa_accum_offset 100
		.amdhsa_reserve_vcc 1
		.amdhsa_reserve_flat_scratch 0
		.amdhsa_float_round_mode_32 0
		.amdhsa_float_round_mode_16_64 0
		.amdhsa_float_denorm_mode_32 3
		.amdhsa_float_denorm_mode_16_64 3
		.amdhsa_dx10_clamp 1
		.amdhsa_ieee_mode 1
		.amdhsa_fp16_overflow 0
		.amdhsa_tg_split 0
		.amdhsa_exception_fp_ieee_invalid_op 0
		.amdhsa_exception_fp_denorm_src 0
		.amdhsa_exception_fp_ieee_div_zero 0
		.amdhsa_exception_fp_ieee_overflow 0
		.amdhsa_exception_fp_ieee_underflow 0
		.amdhsa_exception_fp_ieee_inexact 0
		.amdhsa_exception_int_div_zero 0
	.end_amdhsa_kernel
	.section	.text._Z23fp32_router_gemm_kernelI14__hip_bfloat16Li128ELi9ELi256ELi3072EEvPfPKT_PKf,"axG",@progbits,_Z23fp32_router_gemm_kernelI14__hip_bfloat16Li128ELi9ELi256ELi3072EEvPfPKT_PKf,comdat
.Lfunc_end40:
	.size	_Z23fp32_router_gemm_kernelI14__hip_bfloat16Li128ELi9ELi256ELi3072EEvPfPKT_PKf, .Lfunc_end40-_Z23fp32_router_gemm_kernelI14__hip_bfloat16Li128ELi9ELi256ELi3072EEvPfPKT_PKf
                                        ; -- End function
	.section	.AMDGPU.csdata,"",@progbits
; Kernel info:
; codeLenInByte = 2816
; NumSgprs: 21
; NumVgprs: 97
; NumAgprs: 0
; TotalNumVgprs: 97
; ScratchSize: 0
; MemoryBound: 0
; FloatMode: 240
; IeeeMode: 1
; LDSByteSize: 144 bytes/workgroup (compile time only)
; SGPRBlocks: 2
; VGPRBlocks: 12
; NumSGPRsForWavesPerEU: 21
; NumVGPRsForWavesPerEU: 97
; AccumOffset: 100
; Occupancy: 4
; WaveLimiterHint : 1
; COMPUTE_PGM_RSRC2:SCRATCH_EN: 0
; COMPUTE_PGM_RSRC2:USER_SGPR: 6
; COMPUTE_PGM_RSRC2:TRAP_HANDLER: 0
; COMPUTE_PGM_RSRC2:TGID_X_EN: 1
; COMPUTE_PGM_RSRC2:TGID_Y_EN: 0
; COMPUTE_PGM_RSRC2:TGID_Z_EN: 0
; COMPUTE_PGM_RSRC2:TIDIG_COMP_CNT: 0
; COMPUTE_PGM_RSRC3_GFX90A:ACCUM_OFFSET: 24
; COMPUTE_PGM_RSRC3_GFX90A:TG_SPLIT: 0
	.section	.text._Z23fp32_router_gemm_kernelI14__hip_bfloat16Li128ELi10ELi256ELi3072EEvPfPKT_PKf,"axG",@progbits,_Z23fp32_router_gemm_kernelI14__hip_bfloat16Li128ELi10ELi256ELi3072EEvPfPKT_PKf,comdat
	.protected	_Z23fp32_router_gemm_kernelI14__hip_bfloat16Li128ELi10ELi256ELi3072EEvPfPKT_PKf ; -- Begin function _Z23fp32_router_gemm_kernelI14__hip_bfloat16Li128ELi10ELi256ELi3072EEvPfPKT_PKf
	.globl	_Z23fp32_router_gemm_kernelI14__hip_bfloat16Li128ELi10ELi256ELi3072EEvPfPKT_PKf
	.p2align	8
	.type	_Z23fp32_router_gemm_kernelI14__hip_bfloat16Li128ELi10ELi256ELi3072EEvPfPKT_PKf,@function
_Z23fp32_router_gemm_kernelI14__hip_bfloat16Li128ELi10ELi256ELi3072EEvPfPKT_PKf: ; @_Z23fp32_router_gemm_kernelI14__hip_bfloat16Li128ELi10ELi256ELi3072EEvPfPKT_PKf
; %bb.0:
	s_load_dwordx4 s[0:3], s[4:5], 0x0
	s_load_dwordx2 s[8:9], s[4:5], 0x10
	s_mul_i32 s4, s6, 0xc00
	s_ashr_i32 s5, s4, 31
	s_lshl_b64 s[4:5], s[4:5], 2
	v_lshlrev_b32_e32 v2, 3, v0
	s_waitcnt lgkmcnt(0)
	s_add_u32 s4, s8, s4
	v_or_b32_e32 v1, 0x400, v2
	v_or_b32_e32 v4, 0x800, v2
	s_addc_u32 s5, s9, s5
	s_mov_b64 s[8:9], 0
	v_mov_b32_e32 v14, 0
	v_mov_b32_e32 v11, s3
	s_movk_i32 s7, 0x1000
	s_movk_i32 s10, 0x3000
	;; [unrolled: 1-line block ×5, first 2 shown]
	s_mov_b32 s14, 0x9000
	s_mov_b32 s15, 0xa000
	;; [unrolled: 1-line block ×4, first 2 shown]
	v_mov_b32_e32 v13, 0
	v_mov_b32_e32 v12, 0
	;; [unrolled: 1-line block ×9, first 2 shown]
.LBB41_1:                               ; =>This Inner Loop Header: Depth=1
	s_cmp_eq_u32 s8, 1
	s_cselect_b64 vcc, -1, 0
	s_cmp_eq_u32 s8, 2
	v_cndmask_b32_e32 v15, v2, v1, vcc
	s_cselect_b64 vcc, -1, 0
	v_cndmask_b32_e32 v15, v15, v4, vcc
	v_lshlrev_b32_e32 v20, 1, v15
	v_add_co_u32_e32 v28, vcc, s2, v20
	v_addc_co_u32_e32 v29, vcc, 0, v11, vcc
	v_add_co_u32_e32 v64, vcc, s7, v28
	v_addc_co_u32_e32 v65, vcc, 0, v29, vcc
	;; [unrolled: 2-line block ×9, first 2 shown]
	v_lshlrev_b32_e32 v15, 2, v15
	global_load_dwordx4 v[16:19], v20, s[2:3]
	v_add_co_u32_e32 v80, vcc, s17, v28
	global_load_dwordx4 v[20:23], v15, s[4:5]
	global_load_dwordx4 v[24:27], v15, s[4:5] offset:16
	v_addc_co_u32_e32 v81, vcc, 0, v29, vcc
	global_load_dwordx4 v[28:31], v[64:65], off offset:2048
	global_load_dwordx4 v[32:35], v[66:67], off
	global_load_dwordx4 v[36:39], v[68:69], off offset:2048
	global_load_dwordx4 v[40:43], v[70:71], off
	;; [unrolled: 2-line block ×4, first 2 shown]
	global_load_dwordx4 v[60:63], v[80:81], off offset:2048
	s_add_u32 s8, s8, 1
	s_addc_u32 s9, s9, 0
	s_cmp_eq_u32 s8, 3
	s_waitcnt vmcnt(8)
	v_and_b32_e32 v75, 0xffff0000, v29
	s_waitcnt vmcnt(7)
	v_and_b32_e32 v71, 0xffff0000, v32
	v_and_b32_e32 v65, 0xffff0000, v16
	v_lshlrev_b32_e32 v64, 16, v16
	v_and_b32_e32 v67, 0xffff0000, v17
	v_lshlrev_b32_e32 v66, 16, v17
	;; [unrolled: 2-line block ×4, first 2 shown]
	v_pk_mul_f32 v[18:19], v[20:21], v[64:65]
	v_pk_mul_f32 v[64:65], v[22:23], v[66:67]
	;; [unrolled: 1-line block ×3, first 2 shown]
	v_and_b32_e32 v69, 0xffff0000, v28
	v_lshlrev_b32_e32 v68, 16, v28
	v_lshlrev_b32_e32 v70, 16, v32
	s_waitcnt vmcnt(6)
	v_and_b32_e32 v73, 0xffff0000, v36
	v_lshlrev_b32_e32 v72, 16, v36
	v_lshlrev_b32_e32 v74, 16, v29
	v_and_b32_e32 v29, 0xffff0000, v33
	v_lshlrev_b32_e32 v28, 16, v33
	v_and_b32_e32 v33, 0xffff0000, v37
	;; [unrolled: 2-line block ×8, first 2 shown]
	v_lshlrev_b32_e32 v80, 16, v39
	s_waitcnt vmcnt(5)
	v_and_b32_e32 v39, 0xffff0000, v40
	v_lshlrev_b32_e32 v38, 16, v40
	v_and_b32_e32 v83, 0xffff0000, v41
	v_lshlrev_b32_e32 v82, 16, v41
	v_and_b32_e32 v41, 0xffff0000, v42
	v_lshlrev_b32_e32 v40, 16, v42
	v_and_b32_e32 v85, 0xffff0000, v43
	v_lshlrev_b32_e32 v84, 16, v43
	s_waitcnt vmcnt(4)
	v_and_b32_e32 v43, 0xffff0000, v44
	v_lshlrev_b32_e32 v42, 16, v44
	v_and_b32_e32 v87, 0xffff0000, v45
	v_lshlrev_b32_e32 v86, 16, v45
	v_and_b32_e32 v45, 0xffff0000, v46
	v_lshlrev_b32_e32 v44, 16, v46
	v_and_b32_e32 v89, 0xffff0000, v47
	;; [unrolled: 9-line block ×6, first 2 shown]
	v_lshlrev_b32_e32 v104, 16, v63
	v_add_f32_e32 v18, v14, v18
	v_pk_mul_f32 v[14:15], v[20:21], v[68:69]
	v_pk_mul_f32 v[62:63], v[20:21], v[70:71]
	;; [unrolled: 1-line block ×9, first 2 shown]
	v_add_f32_e32 v13, v13, v14
	v_add_f32_e32 v12, v12, v62
	;; [unrolled: 1-line block ×9, first 2 shown]
	v_pk_mul_f32 v[58:59], v[22:23], v[74:75]
	v_pk_mul_f32 v[28:29], v[22:23], v[28:29]
	;; [unrolled: 1-line block ×9, first 2 shown]
	v_add_f32_e32 v18, v18, v19
	v_add_f32_e32 v13, v13, v15
	;; [unrolled: 1-line block ×20, first 2 shown]
	v_pk_mul_f32 v[16:17], v[24:25], v[16:17]
	v_pk_mul_f32 v[36:37], v[24:25], v[36:37]
	;; [unrolled: 1-line block ×10, first 2 shown]
	v_add_f32_e32 v14, v18, v65
	v_add_f32_e32 v13, v13, v59
	;; [unrolled: 1-line block ×20, first 2 shown]
	v_pk_mul_f32 v[60:61], v[26:27], v[76:77]
	v_pk_mul_f32 v[76:77], v[26:27], v[78:79]
	;; [unrolled: 1-line block ×9, first 2 shown]
	v_add_f32_e32 v14, v14, v17
	v_add_f32_e32 v13, v13, v37
	;; [unrolled: 1-line block ×30, first 2 shown]
	s_cbranch_scc0 .LBB41_1
; %bb.2:
	v_mbcnt_lo_u32_b32 v1, -1, 0
	v_mbcnt_hi_u32_b32 v15, -1, v1
	v_and_b32_e32 v2, 64, v15
	v_xor_b32_e32 v1, 16, v15
	v_add_u32_e32 v16, 64, v2
	v_cmp_lt_i32_e32 vcc, v1, v16
	v_cndmask_b32_e32 v1, v15, v1, vcc
	v_lshlrev_b32_e32 v1, 2, v1
	ds_bpermute_b32 v4, v1, v14
	v_xor_b32_e32 v2, 8, v15
	v_cmp_lt_i32_e32 vcc, v2, v16
	v_cndmask_b32_e32 v2, v15, v2, vcc
	v_lshlrev_b32_e32 v2, 2, v2
	s_waitcnt lgkmcnt(0)
	v_add_f32_e32 v11, v14, v4
	ds_bpermute_b32 v14, v2, v11
	v_xor_b32_e32 v4, 4, v15
	v_cmp_lt_i32_e32 vcc, v4, v16
	v_cndmask_b32_e32 v4, v15, v4, vcc
	v_lshlrev_b32_e32 v4, 2, v4
	s_waitcnt lgkmcnt(0)
	v_add_f32_e32 v14, v11, v14
	;; [unrolled: 7-line block ×4, first 2 shown]
	ds_bpermute_b32 v17, v15, v16
	v_lshrrev_b32_e32 v14, 5, v0
	v_and_b32_e32 v18, 31, v0
	v_cmp_eq_u32_e32 vcc, 0, v18
	v_lshlrev_b32_e32 v14, 2, v14
	s_and_saveexec_b64 s[2:3], vcc
	s_cbranch_execz .LBB41_4
; %bb.3:
	s_waitcnt lgkmcnt(0)
	v_add_f32_e32 v16, v16, v17
	ds_write_b32 v14, v16
.LBB41_4:
	s_or_b64 exec, exec, s[2:3]
	ds_bpermute_b32 v16, v1, v13
	s_waitcnt lgkmcnt(0)
	v_add_f32_e32 v13, v13, v16
	ds_bpermute_b32 v16, v2, v13
	s_waitcnt lgkmcnt(0)
	v_add_f32_e32 v13, v13, v16
	ds_bpermute_b32 v16, v4, v13
	s_waitcnt lgkmcnt(0)
	v_add_f32_e32 v13, v13, v16
	ds_bpermute_b32 v16, v11, v13
	s_waitcnt lgkmcnt(0)
	v_add_f32_e32 v13, v13, v16
	ds_bpermute_b32 v16, v15, v13
	s_and_saveexec_b64 s[2:3], vcc
	s_cbranch_execz .LBB41_6
; %bb.5:
	s_waitcnt lgkmcnt(0)
	v_add_f32_e32 v13, v13, v16
	ds_write_b32 v14, v13 offset:16
.LBB41_6:
	s_or_b64 exec, exec, s[2:3]
	ds_bpermute_b32 v13, v1, v12
	s_waitcnt lgkmcnt(0)
	v_add_f32_e32 v12, v12, v13
	ds_bpermute_b32 v13, v2, v12
	s_waitcnt lgkmcnt(0)
	v_add_f32_e32 v12, v12, v13
	ds_bpermute_b32 v13, v4, v12
	s_waitcnt lgkmcnt(0)
	v_add_f32_e32 v12, v12, v13
	ds_bpermute_b32 v13, v11, v12
	s_waitcnt lgkmcnt(0)
	v_add_f32_e32 v12, v12, v13
	ds_bpermute_b32 v13, v15, v12
	s_and_saveexec_b64 s[2:3], vcc
	s_cbranch_execz .LBB41_8
; %bb.7:
	s_waitcnt lgkmcnt(0)
	v_add_f32_e32 v12, v12, v13
	ds_write_b32 v14, v12 offset:32
.LBB41_8:
	;; [unrolled: 21-line block ×9, first 2 shown]
	s_or_b64 exec, exec, s[2:3]
	v_cmp_eq_u32_e32 vcc, 0, v0
	s_waitcnt lgkmcnt(0)
	s_barrier
	s_and_saveexec_b64 s[2:3], vcc
	s_cbranch_execz .LBB41_24
; %bb.23:
	v_mov_b32_e32 v16, 0
	ds_read_b128 v[0:3], v16
	s_ashr_i32 s7, s6, 31
	ds_read_b128 v[4:7], v16 offset:16
	ds_read_b128 v[8:11], v16 offset:32
	;; [unrolled: 1-line block ×3, first 2 shown]
	s_lshl_b64 s[2:3], s[6:7], 2
	s_add_u32 s0, s0, s2
	s_waitcnt lgkmcnt(3)
	v_add_f32_e32 v0, 0, v0
	v_add_f32_e32 v0, v0, v1
	;; [unrolled: 1-line block ×4, first 2 shown]
	s_addc_u32 s1, s1, s3
	global_store_dword v16, v0, s[0:1]
	s_waitcnt lgkmcnt(2)
	v_add_f32_e32 v0, 0, v4
	v_add_f32_e32 v0, v0, v5
	;; [unrolled: 1-line block ×4, first 2 shown]
	global_store_dword v16, v0, s[0:1] offset:1024
	s_waitcnt lgkmcnt(1)
	v_add_f32_e32 v0, 0, v8
	v_add_f32_e32 v0, v0, v9
	;; [unrolled: 1-line block ×4, first 2 shown]
	global_store_dword v16, v0, s[0:1] offset:2048
	s_waitcnt lgkmcnt(0)
	v_add_f32_e32 v0, 0, v12
	v_add_f32_e32 v4, v0, v13
	ds_read_b128 v[0:3], v16 offset:64
	v_add_f32_e32 v4, v4, v14
	v_add_f32_e32 v4, v4, v15
	global_store_dword v16, v4, s[0:1] offset:3072
	ds_read_b128 v[4:7], v16 offset:80
	s_waitcnt lgkmcnt(1)
	v_add_f32_e32 v0, 0, v0
	v_add_f32_e32 v0, v0, v1
	;; [unrolled: 1-line block ×4, first 2 shown]
	v_mov_b32_e32 v8, 0x1000
	global_store_dword v8, v0, s[0:1]
	s_waitcnt lgkmcnt(0)
	v_add_f32_e32 v0, 0, v4
	v_add_f32_e32 v4, v0, v5
	ds_read_b128 v[0:3], v16 offset:96
	v_add_f32_e32 v4, v4, v6
	v_add_f32_e32 v4, v4, v7
	global_store_dword v8, v4, s[0:1] offset:1024
	ds_read_b128 v[4:7], v16 offset:112
	s_waitcnt lgkmcnt(1)
	v_add_f32_e32 v0, 0, v0
	v_add_f32_e32 v0, v0, v1
	;; [unrolled: 1-line block ×4, first 2 shown]
	global_store_dword v8, v0, s[0:1] offset:2048
	s_waitcnt lgkmcnt(0)
	v_add_f32_e32 v0, 0, v4
	v_add_f32_e32 v4, v0, v5
	ds_read_b128 v[0:3], v16 offset:128
	v_add_f32_e32 v4, v4, v6
	v_add_f32_e32 v4, v4, v7
	global_store_dword v8, v4, s[0:1] offset:3072
	ds_read_b128 v[4:7], v16 offset:144
	s_waitcnt lgkmcnt(1)
	v_add_f32_e32 v0, 0, v0
	v_add_f32_e32 v0, v0, v1
	;; [unrolled: 1-line block ×4, first 2 shown]
	v_mov_b32_e32 v1, 0x2000
	global_store_dword v1, v0, s[0:1]
	s_waitcnt lgkmcnt(0)
	v_add_f32_e32 v0, 0, v4
	v_add_f32_e32 v0, v0, v5
	;; [unrolled: 1-line block ×4, first 2 shown]
	global_store_dword v1, v0, s[0:1] offset:1024
.LBB41_24:
	s_endpgm
	.section	.rodata,"a",@progbits
	.p2align	6, 0x0
	.amdhsa_kernel _Z23fp32_router_gemm_kernelI14__hip_bfloat16Li128ELi10ELi256ELi3072EEvPfPKT_PKf
		.amdhsa_group_segment_fixed_size 160
		.amdhsa_private_segment_fixed_size 0
		.amdhsa_kernarg_size 24
		.amdhsa_user_sgpr_count 6
		.amdhsa_user_sgpr_private_segment_buffer 1
		.amdhsa_user_sgpr_dispatch_ptr 0
		.amdhsa_user_sgpr_queue_ptr 0
		.amdhsa_user_sgpr_kernarg_segment_ptr 1
		.amdhsa_user_sgpr_dispatch_id 0
		.amdhsa_user_sgpr_flat_scratch_init 0
		.amdhsa_user_sgpr_kernarg_preload_length 0
		.amdhsa_user_sgpr_kernarg_preload_offset 0
		.amdhsa_user_sgpr_private_segment_size 0
		.amdhsa_uses_dynamic_stack 0
		.amdhsa_system_sgpr_private_segment_wavefront_offset 0
		.amdhsa_system_sgpr_workgroup_id_x 1
		.amdhsa_system_sgpr_workgroup_id_y 0
		.amdhsa_system_sgpr_workgroup_id_z 0
		.amdhsa_system_sgpr_workgroup_info 0
		.amdhsa_system_vgpr_workitem_id 0
		.amdhsa_next_free_vgpr 106
		.amdhsa_next_free_sgpr 18
		.amdhsa_accum_offset 108
		.amdhsa_reserve_vcc 1
		.amdhsa_reserve_flat_scratch 0
		.amdhsa_float_round_mode_32 0
		.amdhsa_float_round_mode_16_64 0
		.amdhsa_float_denorm_mode_32 3
		.amdhsa_float_denorm_mode_16_64 3
		.amdhsa_dx10_clamp 1
		.amdhsa_ieee_mode 1
		.amdhsa_fp16_overflow 0
		.amdhsa_tg_split 0
		.amdhsa_exception_fp_ieee_invalid_op 0
		.amdhsa_exception_fp_denorm_src 0
		.amdhsa_exception_fp_ieee_div_zero 0
		.amdhsa_exception_fp_ieee_overflow 0
		.amdhsa_exception_fp_ieee_underflow 0
		.amdhsa_exception_fp_ieee_inexact 0
		.amdhsa_exception_int_div_zero 0
	.end_amdhsa_kernel
	.section	.text._Z23fp32_router_gemm_kernelI14__hip_bfloat16Li128ELi10ELi256ELi3072EEvPfPKT_PKf,"axG",@progbits,_Z23fp32_router_gemm_kernelI14__hip_bfloat16Li128ELi10ELi256ELi3072EEvPfPKT_PKf,comdat
.Lfunc_end41:
	.size	_Z23fp32_router_gemm_kernelI14__hip_bfloat16Li128ELi10ELi256ELi3072EEvPfPKT_PKf, .Lfunc_end41-_Z23fp32_router_gemm_kernelI14__hip_bfloat16Li128ELi10ELi256ELi3072EEvPfPKT_PKf
                                        ; -- End function
	.section	.AMDGPU.csdata,"",@progbits
; Kernel info:
; codeLenInByte = 3084
; NumSgprs: 22
; NumVgprs: 106
; NumAgprs: 0
; TotalNumVgprs: 106
; ScratchSize: 0
; MemoryBound: 0
; FloatMode: 240
; IeeeMode: 1
; LDSByteSize: 160 bytes/workgroup (compile time only)
; SGPRBlocks: 2
; VGPRBlocks: 13
; NumSGPRsForWavesPerEU: 22
; NumVGPRsForWavesPerEU: 106
; AccumOffset: 108
; Occupancy: 4
; WaveLimiterHint : 1
; COMPUTE_PGM_RSRC2:SCRATCH_EN: 0
; COMPUTE_PGM_RSRC2:USER_SGPR: 6
; COMPUTE_PGM_RSRC2:TRAP_HANDLER: 0
; COMPUTE_PGM_RSRC2:TGID_X_EN: 1
; COMPUTE_PGM_RSRC2:TGID_Y_EN: 0
; COMPUTE_PGM_RSRC2:TGID_Z_EN: 0
; COMPUTE_PGM_RSRC2:TIDIG_COMP_CNT: 0
; COMPUTE_PGM_RSRC3_GFX90A:ACCUM_OFFSET: 26
; COMPUTE_PGM_RSRC3_GFX90A:TG_SPLIT: 0
	.section	.text._Z23fp32_router_gemm_kernelI14__hip_bfloat16Li128ELi11ELi256ELi3072EEvPfPKT_PKf,"axG",@progbits,_Z23fp32_router_gemm_kernelI14__hip_bfloat16Li128ELi11ELi256ELi3072EEvPfPKT_PKf,comdat
	.protected	_Z23fp32_router_gemm_kernelI14__hip_bfloat16Li128ELi11ELi256ELi3072EEvPfPKT_PKf ; -- Begin function _Z23fp32_router_gemm_kernelI14__hip_bfloat16Li128ELi11ELi256ELi3072EEvPfPKT_PKf
	.globl	_Z23fp32_router_gemm_kernelI14__hip_bfloat16Li128ELi11ELi256ELi3072EEvPfPKT_PKf
	.p2align	8
	.type	_Z23fp32_router_gemm_kernelI14__hip_bfloat16Li128ELi11ELi256ELi3072EEvPfPKT_PKf,@function
_Z23fp32_router_gemm_kernelI14__hip_bfloat16Li128ELi11ELi256ELi3072EEvPfPKT_PKf: ; @_Z23fp32_router_gemm_kernelI14__hip_bfloat16Li128ELi11ELi256ELi3072EEvPfPKT_PKf
; %bb.0:
	s_load_dwordx4 s[0:3], s[4:5], 0x0
	s_load_dwordx2 s[8:9], s[4:5], 0x10
	s_mul_i32 s4, s6, 0xc00
	s_ashr_i32 s5, s4, 31
	s_lshl_b64 s[4:5], s[4:5], 2
	v_lshlrev_b32_e32 v2, 3, v0
	s_waitcnt lgkmcnt(0)
	s_add_u32 s4, s8, s4
	v_or_b32_e32 v1, 0x400, v2
	v_or_b32_e32 v4, 0x800, v2
	s_addc_u32 s5, s9, s5
	s_mov_b64 s[8:9], 0
	v_mov_b32_e32 v15, 0
	v_mov_b32_e32 v12, s3
	s_movk_i32 s7, 0x1000
	s_movk_i32 s10, 0x3000
	;; [unrolled: 1-line block ×5, first 2 shown]
	s_mov_b32 s14, 0x9000
	s_mov_b32 s15, 0xa000
	;; [unrolled: 1-line block ×5, first 2 shown]
	v_mov_b32_e32 v14, 0
	v_mov_b32_e32 v13, 0
	v_mov_b32_e32 v11, 0
	v_mov_b32_e32 v10, 0
	v_mov_b32_e32 v9, 0
	v_mov_b32_e32 v8, 0
	v_mov_b32_e32 v7, 0
	v_mov_b32_e32 v6, 0
	v_mov_b32_e32 v5, 0
	v_mov_b32_e32 v3, 0
.LBB42_1:                               ; =>This Inner Loop Header: Depth=1
	s_cmp_eq_u32 s8, 1
	s_cselect_b64 vcc, -1, 0
	s_cmp_eq_u32 s8, 2
	v_cndmask_b32_e32 v16, v2, v1, vcc
	s_cselect_b64 vcc, -1, 0
	v_cndmask_b32_e32 v16, v16, v4, vcc
	v_lshlrev_b32_e32 v20, 1, v16
	v_add_co_u32_e32 v29, vcc, s2, v20
	v_addc_co_u32_e32 v30, vcc, 0, v12, vcc
	v_add_co_u32_e32 v68, vcc, s7, v29
	v_addc_co_u32_e32 v69, vcc, 0, v30, vcc
	;; [unrolled: 2-line block ×10, first 2 shown]
	v_lshlrev_b32_e32 v28, 2, v16
	global_load_dwordx4 v[16:19], v20, s[2:3]
	v_add_co_u32_e32 v86, vcc, s18, v29
	global_load_dwordx4 v[20:23], v28, s[4:5]
	global_load_dwordx4 v[24:27], v28, s[4:5] offset:16
	v_addc_co_u32_e32 v87, vcc, 0, v30, vcc
	global_load_dwordx4 v[28:31], v[68:69], off offset:2048
	global_load_dwordx4 v[32:35], v[70:71], off
	global_load_dwordx4 v[36:39], v[72:73], off offset:2048
	global_load_dwordx4 v[40:43], v[74:75], off
	;; [unrolled: 2-line block ×5, first 2 shown]
	s_add_u32 s8, s8, 1
	s_addc_u32 s9, s9, 0
	s_cmp_eq_u32 s8, 3
	s_waitcnt vmcnt(9)
	v_and_b32_e32 v79, 0xffff0000, v29
	s_waitcnt vmcnt(8)
	v_and_b32_e32 v75, 0xffff0000, v32
	v_lshlrev_b32_e32 v74, 16, v32
	v_and_b32_e32 v69, 0xffff0000, v16
	v_lshlrev_b32_e32 v68, 16, v16
	;; [unrolled: 2-line block ×5, first 2 shown]
	v_pk_mul_f32 v[18:19], v[20:21], v[68:69]
	v_pk_mul_f32 v[68:69], v[22:23], v[70:71]
	;; [unrolled: 1-line block ×3, first 2 shown]
	v_and_b32_e32 v73, 0xffff0000, v28
	v_lshlrev_b32_e32 v72, 16, v28
	s_waitcnt vmcnt(7)
	v_and_b32_e32 v77, 0xffff0000, v36
	v_lshlrev_b32_e32 v76, 16, v36
	v_lshlrev_b32_e32 v78, 16, v29
	v_and_b32_e32 v29, 0xffff0000, v33
	v_lshlrev_b32_e32 v28, 16, v33
	v_and_b32_e32 v33, 0xffff0000, v37
	;; [unrolled: 2-line block ×8, first 2 shown]
	v_lshlrev_b32_e32 v84, 16, v39
	s_waitcnt vmcnt(6)
	v_and_b32_e32 v39, 0xffff0000, v40
	v_lshlrev_b32_e32 v38, 16, v40
	v_and_b32_e32 v87, 0xffff0000, v41
	v_lshlrev_b32_e32 v86, 16, v41
	v_and_b32_e32 v41, 0xffff0000, v42
	v_lshlrev_b32_e32 v40, 16, v42
	v_and_b32_e32 v89, 0xffff0000, v43
	v_lshlrev_b32_e32 v88, 16, v43
	s_waitcnt vmcnt(5)
	v_and_b32_e32 v43, 0xffff0000, v44
	v_lshlrev_b32_e32 v42, 16, v44
	v_and_b32_e32 v91, 0xffff0000, v45
	v_lshlrev_b32_e32 v90, 16, v45
	v_and_b32_e32 v45, 0xffff0000, v46
	v_lshlrev_b32_e32 v44, 16, v46
	v_and_b32_e32 v93, 0xffff0000, v47
	;; [unrolled: 9-line block ×7, first 2 shown]
	v_lshlrev_b32_e32 v112, 16, v67
	v_pk_mul_f32 v[66:67], v[20:21], v[72:73]
	v_pk_mul_f32 v[72:73], v[20:21], v[74:75]
	;; [unrolled: 1-line block ×10, first 2 shown]
	v_add_f32_e32 v15, v15, v18
	v_add_f32_e32 v14, v14, v66
	;; [unrolled: 1-line block ×11, first 2 shown]
	v_pk_mul_f32 v[62:63], v[22:23], v[78:79]
	v_pk_mul_f32 v[28:29], v[22:23], v[28:29]
	;; [unrolled: 1-line block ×10, first 2 shown]
	v_add_f32_e32 v15, v15, v19
	v_add_f32_e32 v14, v14, v67
	v_add_f32_e32 v13, v13, v73
	v_add_f32_e32 v11, v11, v75
	v_add_f32_e32 v10, v10, v39
	v_add_f32_e32 v9, v9, v43
	v_add_f32_e32 v8, v8, v47
	v_add_f32_e32 v7, v7, v51
	v_add_f32_e32 v6, v6, v55
	v_add_f32_e32 v5, v5, v59
	v_add_f32_e32 v3, v3, v21
	v_add_f32_e32 v15, v15, v68
	v_add_f32_e32 v14, v14, v62
	v_add_f32_e32 v13, v13, v28
	v_add_f32_e32 v11, v11, v32
	v_add_f32_e32 v10, v10, v76
	v_add_f32_e32 v9, v9, v78
	v_add_f32_e32 v8, v8, v86
	v_add_f32_e32 v7, v7, v90
	v_add_f32_e32 v6, v6, v94
	v_add_f32_e32 v5, v5, v98
	v_add_f32_e32 v3, v3, v22
	v_pk_mul_f32 v[16:17], v[24:25], v[16:17]
	v_pk_mul_f32 v[36:37], v[24:25], v[36:37]
	;; [unrolled: 1-line block ×11, first 2 shown]
	v_add_f32_e32 v15, v15, v69
	v_add_f32_e32 v14, v14, v63
	;; [unrolled: 1-line block ×22, first 2 shown]
	v_pk_mul_f32 v[64:65], v[26:27], v[80:81]
	v_pk_mul_f32 v[80:81], v[26:27], v[82:83]
	;; [unrolled: 1-line block ×10, first 2 shown]
	v_add_f32_e32 v15, v15, v17
	v_add_f32_e32 v14, v14, v37
	;; [unrolled: 1-line block ×33, first 2 shown]
	s_cbranch_scc0 .LBB42_1
; %bb.2:
	v_mbcnt_lo_u32_b32 v1, -1, 0
	v_mbcnt_hi_u32_b32 v16, -1, v1
	v_and_b32_e32 v2, 64, v16
	v_xor_b32_e32 v1, 16, v16
	v_add_u32_e32 v17, 64, v2
	v_cmp_lt_i32_e32 vcc, v1, v17
	v_cndmask_b32_e32 v1, v16, v1, vcc
	v_lshlrev_b32_e32 v1, 2, v1
	ds_bpermute_b32 v4, v1, v15
	v_xor_b32_e32 v2, 8, v16
	v_cmp_lt_i32_e32 vcc, v2, v17
	v_cndmask_b32_e32 v2, v16, v2, vcc
	v_lshlrev_b32_e32 v2, 2, v2
	s_waitcnt lgkmcnt(0)
	v_add_f32_e32 v12, v15, v4
	ds_bpermute_b32 v15, v2, v12
	v_xor_b32_e32 v4, 4, v16
	v_cmp_lt_i32_e32 vcc, v4, v17
	v_cndmask_b32_e32 v4, v16, v4, vcc
	v_lshlrev_b32_e32 v4, 2, v4
	s_waitcnt lgkmcnt(0)
	v_add_f32_e32 v15, v12, v15
	;; [unrolled: 7-line block ×4, first 2 shown]
	ds_bpermute_b32 v18, v16, v17
	v_lshrrev_b32_e32 v15, 5, v0
	v_and_b32_e32 v19, 31, v0
	v_cmp_eq_u32_e32 vcc, 0, v19
	v_lshlrev_b32_e32 v15, 2, v15
	s_and_saveexec_b64 s[2:3], vcc
	s_cbranch_execz .LBB42_4
; %bb.3:
	s_waitcnt lgkmcnt(0)
	v_add_f32_e32 v17, v17, v18
	ds_write_b32 v15, v17
.LBB42_4:
	s_or_b64 exec, exec, s[2:3]
	ds_bpermute_b32 v17, v1, v14
	s_waitcnt lgkmcnt(0)
	v_add_f32_e32 v14, v14, v17
	ds_bpermute_b32 v17, v2, v14
	s_waitcnt lgkmcnt(0)
	v_add_f32_e32 v14, v14, v17
	ds_bpermute_b32 v17, v4, v14
	s_waitcnt lgkmcnt(0)
	v_add_f32_e32 v14, v14, v17
	ds_bpermute_b32 v17, v12, v14
	s_waitcnt lgkmcnt(0)
	v_add_f32_e32 v14, v14, v17
	ds_bpermute_b32 v17, v16, v14
	s_and_saveexec_b64 s[2:3], vcc
	s_cbranch_execz .LBB42_6
; %bb.5:
	s_waitcnt lgkmcnt(0)
	v_add_f32_e32 v14, v14, v17
	ds_write_b32 v15, v14 offset:16
.LBB42_6:
	s_or_b64 exec, exec, s[2:3]
	ds_bpermute_b32 v14, v1, v13
	s_waitcnt lgkmcnt(0)
	v_add_f32_e32 v13, v13, v14
	ds_bpermute_b32 v14, v2, v13
	s_waitcnt lgkmcnt(0)
	v_add_f32_e32 v13, v13, v14
	ds_bpermute_b32 v14, v4, v13
	s_waitcnt lgkmcnt(0)
	v_add_f32_e32 v13, v13, v14
	ds_bpermute_b32 v14, v12, v13
	s_waitcnt lgkmcnt(0)
	v_add_f32_e32 v13, v13, v14
	ds_bpermute_b32 v14, v16, v13
	s_and_saveexec_b64 s[2:3], vcc
	s_cbranch_execz .LBB42_8
; %bb.7:
	s_waitcnt lgkmcnt(0)
	v_add_f32_e32 v13, v13, v14
	ds_write_b32 v15, v13 offset:32
.LBB42_8:
	s_or_b64 exec, exec, s[2:3]
	ds_bpermute_b32 v13, v1, v11
	s_waitcnt lgkmcnt(0)
	v_add_f32_e32 v11, v11, v13
	ds_bpermute_b32 v13, v2, v11
	s_waitcnt lgkmcnt(0)
	v_add_f32_e32 v11, v11, v13
	ds_bpermute_b32 v13, v4, v11
	s_waitcnt lgkmcnt(0)
	v_add_f32_e32 v11, v11, v13
	ds_bpermute_b32 v13, v12, v11
	s_waitcnt lgkmcnt(0)
	v_add_f32_e32 v11, v11, v13
	ds_bpermute_b32 v13, v16, v11
	s_and_saveexec_b64 s[2:3], vcc
	s_cbranch_execz .LBB42_10
; %bb.9:
	s_waitcnt lgkmcnt(0)
	v_add_f32_e32 v11, v11, v13
	ds_write_b32 v15, v11 offset:48
.LBB42_10:
	s_or_b64 exec, exec, s[2:3]
	ds_bpermute_b32 v11, v1, v10
	s_waitcnt lgkmcnt(0)
	v_add_f32_e32 v10, v10, v11
	ds_bpermute_b32 v11, v2, v10
	s_waitcnt lgkmcnt(0)
	v_add_f32_e32 v10, v10, v11
	ds_bpermute_b32 v11, v4, v10
	s_waitcnt lgkmcnt(0)
	v_add_f32_e32 v10, v10, v11
	ds_bpermute_b32 v11, v12, v10
	s_waitcnt lgkmcnt(0)
	v_add_f32_e32 v10, v10, v11
	ds_bpermute_b32 v11, v16, v10
	s_and_saveexec_b64 s[2:3], vcc
	s_cbranch_execz .LBB42_12
; %bb.11:
	s_waitcnt lgkmcnt(0)
	v_add_f32_e32 v10, v10, v11
	ds_write_b32 v15, v10 offset:64
.LBB42_12:
	s_or_b64 exec, exec, s[2:3]
	ds_bpermute_b32 v10, v1, v9
	s_waitcnt lgkmcnt(0)
	v_add_f32_e32 v9, v9, v10
	ds_bpermute_b32 v10, v2, v9
	s_waitcnt lgkmcnt(0)
	v_add_f32_e32 v9, v9, v10
	ds_bpermute_b32 v10, v4, v9
	s_waitcnt lgkmcnt(0)
	v_add_f32_e32 v9, v9, v10
	ds_bpermute_b32 v10, v12, v9
	s_waitcnt lgkmcnt(0)
	v_add_f32_e32 v9, v9, v10
	ds_bpermute_b32 v10, v16, v9
	s_and_saveexec_b64 s[2:3], vcc
	s_cbranch_execz .LBB42_14
; %bb.13:
	s_waitcnt lgkmcnt(0)
	v_add_f32_e32 v9, v9, v10
	ds_write_b32 v15, v9 offset:80
.LBB42_14:
	s_or_b64 exec, exec, s[2:3]
	ds_bpermute_b32 v9, v1, v8
	s_waitcnt lgkmcnt(0)
	v_add_f32_e32 v8, v8, v9
	ds_bpermute_b32 v9, v2, v8
	s_waitcnt lgkmcnt(0)
	v_add_f32_e32 v8, v8, v9
	ds_bpermute_b32 v9, v4, v8
	s_waitcnt lgkmcnt(0)
	v_add_f32_e32 v8, v8, v9
	ds_bpermute_b32 v9, v12, v8
	s_waitcnt lgkmcnt(0)
	v_add_f32_e32 v8, v8, v9
	ds_bpermute_b32 v9, v16, v8
	s_and_saveexec_b64 s[2:3], vcc
	s_cbranch_execz .LBB42_16
; %bb.15:
	s_waitcnt lgkmcnt(0)
	v_add_f32_e32 v8, v8, v9
	ds_write_b32 v15, v8 offset:96
.LBB42_16:
	s_or_b64 exec, exec, s[2:3]
	ds_bpermute_b32 v8, v1, v7
	s_waitcnt lgkmcnt(0)
	v_add_f32_e32 v7, v7, v8
	ds_bpermute_b32 v8, v2, v7
	s_waitcnt lgkmcnt(0)
	v_add_f32_e32 v7, v7, v8
	ds_bpermute_b32 v8, v4, v7
	s_waitcnt lgkmcnt(0)
	v_add_f32_e32 v7, v7, v8
	ds_bpermute_b32 v8, v12, v7
	s_waitcnt lgkmcnt(0)
	v_add_f32_e32 v7, v7, v8
	ds_bpermute_b32 v8, v16, v7
	s_and_saveexec_b64 s[2:3], vcc
	s_cbranch_execz .LBB42_18
; %bb.17:
	s_waitcnt lgkmcnt(0)
	v_add_f32_e32 v7, v7, v8
	ds_write_b32 v15, v7 offset:112
.LBB42_18:
	s_or_b64 exec, exec, s[2:3]
	ds_bpermute_b32 v7, v1, v6
	s_waitcnt lgkmcnt(0)
	v_add_f32_e32 v6, v6, v7
	ds_bpermute_b32 v7, v2, v6
	s_waitcnt lgkmcnt(0)
	v_add_f32_e32 v6, v6, v7
	ds_bpermute_b32 v7, v4, v6
	s_waitcnt lgkmcnt(0)
	v_add_f32_e32 v6, v6, v7
	ds_bpermute_b32 v7, v12, v6
	s_waitcnt lgkmcnt(0)
	v_add_f32_e32 v6, v6, v7
	ds_bpermute_b32 v7, v16, v6
	s_and_saveexec_b64 s[2:3], vcc
	s_cbranch_execz .LBB42_20
; %bb.19:
	s_waitcnt lgkmcnt(0)
	v_add_f32_e32 v6, v6, v7
	ds_write_b32 v15, v6 offset:128
.LBB42_20:
	s_or_b64 exec, exec, s[2:3]
	ds_bpermute_b32 v6, v1, v5
	s_waitcnt lgkmcnt(0)
	v_add_f32_e32 v5, v5, v6
	ds_bpermute_b32 v6, v2, v5
	s_waitcnt lgkmcnt(0)
	v_add_f32_e32 v5, v5, v6
	ds_bpermute_b32 v6, v4, v5
	s_waitcnt lgkmcnt(0)
	v_add_f32_e32 v5, v5, v6
	ds_bpermute_b32 v6, v12, v5
	s_waitcnt lgkmcnt(0)
	v_add_f32_e32 v5, v5, v6
	ds_bpermute_b32 v6, v16, v5
	s_and_saveexec_b64 s[2:3], vcc
	s_cbranch_execz .LBB42_22
; %bb.21:
	s_waitcnt lgkmcnt(0)
	v_add_f32_e32 v5, v5, v6
	ds_write_b32 v15, v5 offset:144
.LBB42_22:
	s_or_b64 exec, exec, s[2:3]
	ds_bpermute_b32 v1, v1, v3
	s_waitcnt lgkmcnt(0)
	v_add_f32_e32 v1, v3, v1
	ds_bpermute_b32 v2, v2, v1
	s_waitcnt lgkmcnt(0)
	v_add_f32_e32 v1, v1, v2
	ds_bpermute_b32 v2, v4, v1
	s_waitcnt lgkmcnt(0)
	v_add_f32_e32 v1, v1, v2
	ds_bpermute_b32 v2, v12, v1
	s_waitcnt lgkmcnt(0)
	v_add_f32_e32 v1, v1, v2
	ds_bpermute_b32 v2, v16, v1
	s_and_saveexec_b64 s[2:3], vcc
	s_cbranch_execz .LBB42_24
; %bb.23:
	s_waitcnt lgkmcnt(0)
	v_add_f32_e32 v1, v1, v2
	ds_write_b32 v15, v1 offset:160
.LBB42_24:
	s_or_b64 exec, exec, s[2:3]
	v_cmp_eq_u32_e32 vcc, 0, v0
	s_waitcnt lgkmcnt(0)
	s_barrier
	s_and_saveexec_b64 s[2:3], vcc
	s_cbranch_execz .LBB42_26
; %bb.25:
	v_mov_b32_e32 v16, 0
	ds_read_b128 v[0:3], v16
	s_ashr_i32 s7, s6, 31
	ds_read_b128 v[4:7], v16 offset:16
	ds_read_b128 v[8:11], v16 offset:32
	;; [unrolled: 1-line block ×3, first 2 shown]
	s_lshl_b64 s[2:3], s[6:7], 2
	s_add_u32 s0, s0, s2
	s_waitcnt lgkmcnt(3)
	v_add_f32_e32 v0, 0, v0
	v_add_f32_e32 v0, v0, v1
	;; [unrolled: 1-line block ×4, first 2 shown]
	s_addc_u32 s1, s1, s3
	global_store_dword v16, v0, s[0:1]
	s_waitcnt lgkmcnt(2)
	v_add_f32_e32 v0, 0, v4
	v_add_f32_e32 v0, v0, v5
	;; [unrolled: 1-line block ×4, first 2 shown]
	global_store_dword v16, v0, s[0:1] offset:1024
	s_waitcnt lgkmcnt(1)
	v_add_f32_e32 v0, 0, v8
	v_add_f32_e32 v0, v0, v9
	v_add_f32_e32 v0, v0, v10
	v_add_f32_e32 v0, v0, v11
	global_store_dword v16, v0, s[0:1] offset:2048
	s_waitcnt lgkmcnt(0)
	v_add_f32_e32 v0, 0, v12
	v_add_f32_e32 v4, v0, v13
	ds_read_b128 v[0:3], v16 offset:64
	v_add_f32_e32 v4, v4, v14
	v_add_f32_e32 v4, v4, v15
	global_store_dword v16, v4, s[0:1] offset:3072
	ds_read_b128 v[4:7], v16 offset:80
	s_waitcnt lgkmcnt(1)
	v_add_f32_e32 v0, 0, v0
	v_add_f32_e32 v0, v0, v1
	;; [unrolled: 1-line block ×4, first 2 shown]
	v_mov_b32_e32 v8, 0x1000
	global_store_dword v8, v0, s[0:1]
	s_waitcnt lgkmcnt(0)
	v_add_f32_e32 v0, 0, v4
	v_add_f32_e32 v4, v0, v5
	ds_read_b128 v[0:3], v16 offset:96
	v_add_f32_e32 v4, v4, v6
	v_add_f32_e32 v4, v4, v7
	global_store_dword v8, v4, s[0:1] offset:1024
	ds_read_b128 v[4:7], v16 offset:112
	s_waitcnt lgkmcnt(1)
	v_add_f32_e32 v0, 0, v0
	v_add_f32_e32 v0, v0, v1
	;; [unrolled: 1-line block ×4, first 2 shown]
	global_store_dword v8, v0, s[0:1] offset:2048
	s_waitcnt lgkmcnt(0)
	v_add_f32_e32 v0, 0, v4
	v_add_f32_e32 v4, v0, v5
	ds_read_b128 v[0:3], v16 offset:128
	v_add_f32_e32 v4, v4, v6
	v_add_f32_e32 v4, v4, v7
	global_store_dword v8, v4, s[0:1] offset:3072
	ds_read_b128 v[4:7], v16 offset:144
	s_waitcnt lgkmcnt(1)
	v_add_f32_e32 v0, 0, v0
	v_add_f32_e32 v0, v0, v1
	;; [unrolled: 1-line block ×4, first 2 shown]
	v_mov_b32_e32 v8, 0x2000
	global_store_dword v8, v0, s[0:1]
	ds_read_b128 v[0:3], v16 offset:160
	s_waitcnt lgkmcnt(1)
	v_add_f32_e32 v4, 0, v4
	v_add_f32_e32 v4, v4, v5
	;; [unrolled: 1-line block ×4, first 2 shown]
	s_waitcnt lgkmcnt(0)
	v_add_f32_e32 v0, 0, v0
	v_add_f32_e32 v0, v0, v1
	;; [unrolled: 1-line block ×4, first 2 shown]
	global_store_dword v8, v4, s[0:1] offset:1024
	global_store_dword v8, v0, s[0:1] offset:2048
.LBB42_26:
	s_endpgm
	.section	.rodata,"a",@progbits
	.p2align	6, 0x0
	.amdhsa_kernel _Z23fp32_router_gemm_kernelI14__hip_bfloat16Li128ELi11ELi256ELi3072EEvPfPKT_PKf
		.amdhsa_group_segment_fixed_size 176
		.amdhsa_private_segment_fixed_size 0
		.amdhsa_kernarg_size 24
		.amdhsa_user_sgpr_count 6
		.amdhsa_user_sgpr_private_segment_buffer 1
		.amdhsa_user_sgpr_dispatch_ptr 0
		.amdhsa_user_sgpr_queue_ptr 0
		.amdhsa_user_sgpr_kernarg_segment_ptr 1
		.amdhsa_user_sgpr_dispatch_id 0
		.amdhsa_user_sgpr_flat_scratch_init 0
		.amdhsa_user_sgpr_kernarg_preload_length 0
		.amdhsa_user_sgpr_kernarg_preload_offset 0
		.amdhsa_user_sgpr_private_segment_size 0
		.amdhsa_uses_dynamic_stack 0
		.amdhsa_system_sgpr_private_segment_wavefront_offset 0
		.amdhsa_system_sgpr_workgroup_id_x 1
		.amdhsa_system_sgpr_workgroup_id_y 0
		.amdhsa_system_sgpr_workgroup_id_z 0
		.amdhsa_system_sgpr_workgroup_info 0
		.amdhsa_system_vgpr_workitem_id 0
		.amdhsa_next_free_vgpr 114
		.amdhsa_next_free_sgpr 19
		.amdhsa_accum_offset 116
		.amdhsa_reserve_vcc 1
		.amdhsa_reserve_flat_scratch 0
		.amdhsa_float_round_mode_32 0
		.amdhsa_float_round_mode_16_64 0
		.amdhsa_float_denorm_mode_32 3
		.amdhsa_float_denorm_mode_16_64 3
		.amdhsa_dx10_clamp 1
		.amdhsa_ieee_mode 1
		.amdhsa_fp16_overflow 0
		.amdhsa_tg_split 0
		.amdhsa_exception_fp_ieee_invalid_op 0
		.amdhsa_exception_fp_denorm_src 0
		.amdhsa_exception_fp_ieee_div_zero 0
		.amdhsa_exception_fp_ieee_overflow 0
		.amdhsa_exception_fp_ieee_underflow 0
		.amdhsa_exception_fp_ieee_inexact 0
		.amdhsa_exception_int_div_zero 0
	.end_amdhsa_kernel
	.section	.text._Z23fp32_router_gemm_kernelI14__hip_bfloat16Li128ELi11ELi256ELi3072EEvPfPKT_PKf,"axG",@progbits,_Z23fp32_router_gemm_kernelI14__hip_bfloat16Li128ELi11ELi256ELi3072EEvPfPKT_PKf,comdat
.Lfunc_end42:
	.size	_Z23fp32_router_gemm_kernelI14__hip_bfloat16Li128ELi11ELi256ELi3072EEvPfPKT_PKf, .Lfunc_end42-_Z23fp32_router_gemm_kernelI14__hip_bfloat16Li128ELi11ELi256ELi3072EEvPfPKT_PKf
                                        ; -- End function
	.section	.AMDGPU.csdata,"",@progbits
; Kernel info:
; codeLenInByte = 3364
; NumSgprs: 23
; NumVgprs: 114
; NumAgprs: 0
; TotalNumVgprs: 114
; ScratchSize: 0
; MemoryBound: 0
; FloatMode: 240
; IeeeMode: 1
; LDSByteSize: 176 bytes/workgroup (compile time only)
; SGPRBlocks: 2
; VGPRBlocks: 14
; NumSGPRsForWavesPerEU: 23
; NumVGPRsForWavesPerEU: 114
; AccumOffset: 116
; Occupancy: 4
; WaveLimiterHint : 1
; COMPUTE_PGM_RSRC2:SCRATCH_EN: 0
; COMPUTE_PGM_RSRC2:USER_SGPR: 6
; COMPUTE_PGM_RSRC2:TRAP_HANDLER: 0
; COMPUTE_PGM_RSRC2:TGID_X_EN: 1
; COMPUTE_PGM_RSRC2:TGID_Y_EN: 0
; COMPUTE_PGM_RSRC2:TGID_Z_EN: 0
; COMPUTE_PGM_RSRC2:TIDIG_COMP_CNT: 0
; COMPUTE_PGM_RSRC3_GFX90A:ACCUM_OFFSET: 28
; COMPUTE_PGM_RSRC3_GFX90A:TG_SPLIT: 0
	.section	.text._Z23fp32_router_gemm_kernelI14__hip_bfloat16Li128ELi12ELi256ELi3072EEvPfPKT_PKf,"axG",@progbits,_Z23fp32_router_gemm_kernelI14__hip_bfloat16Li128ELi12ELi256ELi3072EEvPfPKT_PKf,comdat
	.protected	_Z23fp32_router_gemm_kernelI14__hip_bfloat16Li128ELi12ELi256ELi3072EEvPfPKT_PKf ; -- Begin function _Z23fp32_router_gemm_kernelI14__hip_bfloat16Li128ELi12ELi256ELi3072EEvPfPKT_PKf
	.globl	_Z23fp32_router_gemm_kernelI14__hip_bfloat16Li128ELi12ELi256ELi3072EEvPfPKT_PKf
	.p2align	8
	.type	_Z23fp32_router_gemm_kernelI14__hip_bfloat16Li128ELi12ELi256ELi3072EEvPfPKT_PKf,@function
_Z23fp32_router_gemm_kernelI14__hip_bfloat16Li128ELi12ELi256ELi3072EEvPfPKT_PKf: ; @_Z23fp32_router_gemm_kernelI14__hip_bfloat16Li128ELi12ELi256ELi3072EEvPfPKT_PKf
; %bb.0:
	s_load_dwordx4 s[0:3], s[4:5], 0x0
	s_load_dwordx2 s[8:9], s[4:5], 0x10
	s_mul_i32 s4, s6, 0xc00
	s_ashr_i32 s5, s4, 31
	s_lshl_b64 s[4:5], s[4:5], 2
	v_lshlrev_b32_e32 v2, 3, v0
	s_waitcnt lgkmcnt(0)
	s_add_u32 s4, s8, s4
	v_or_b32_e32 v1, 0x400, v2
	v_or_b32_e32 v4, 0x800, v2
	s_addc_u32 s5, s9, s5
	s_mov_b64 s[8:9], 0
	v_mov_b32_e32 v24, 0
	v_mov_b32_e32 v20, s3
	s_movk_i32 s7, 0x1000
	s_movk_i32 s10, 0x3000
	;; [unrolled: 1-line block ×5, first 2 shown]
	s_mov_b32 s14, 0x9000
	s_mov_b32 s15, 0xa000
	;; [unrolled: 1-line block ×6, first 2 shown]
	v_mov_b32_e32 v23, 0
	v_mov_b32_e32 v22, 0
	;; [unrolled: 1-line block ×11, first 2 shown]
.LBB43_1:                               ; =>This Inner Loop Header: Depth=1
	s_cmp_eq_u32 s8, 1
	s_cselect_b64 vcc, -1, 0
	s_cmp_eq_u32 s8, 2
	v_cndmask_b32_e32 v6, v2, v1, vcc
	s_cselect_b64 vcc, -1, 0
	v_cndmask_b32_e32 v6, v6, v4, vcc
	v_lshlrev_b32_e32 v7, 1, v6
	v_add_co_u32_e32 v26, vcc, s2, v7
	v_addc_co_u32_e32 v27, vcc, 0, v20, vcc
	v_lshlrev_b32_e32 v25, 2, v6
	v_add_co_u32_e32 v6, vcc, s7, v26
	global_load_dwordx4 v[8:11], v7, s[2:3]
	v_addc_co_u32_e32 v7, vcc, 0, v27, vcc
	v_add_co_u32_e32 v12, vcc, s10, v26
	v_addc_co_u32_e32 v13, vcc, 0, v27, vcc
	v_add_co_u32_e32 v70, vcc, s11, v26
	;; [unrolled: 2-line block ×10, first 2 shown]
	v_addc_co_u32_e32 v87, vcc, 0, v27, vcc
	global_load_dwordx4 v[26:29], v[6:7], off offset:2048
	global_load_dwordx4 v[30:33], v[12:13], off
	global_load_dwordx4 v[34:37], v[70:71], off offset:2048
	global_load_dwordx4 v[38:41], v[72:73], off
	;; [unrolled: 2-line block ×5, first 2 shown]
	global_load_dwordx4 v[66:69], v[86:87], off offset:2048
	s_add_u32 s8, s8, 1
	s_addc_u32 s9, s9, 0
	s_cmp_eq_u32 s8, 3
	s_waitcnt vmcnt(11)
	v_and_b32_e32 v71, 0xffff0000, v8
	v_lshlrev_b32_e32 v70, 16, v8
	v_and_b32_e32 v73, 0xffff0000, v9
	v_lshlrev_b32_e32 v72, 16, v9
	;; [unrolled: 2-line block ×4, first 2 shown]
	s_waitcnt vmcnt(10)
	v_and_b32_e32 v75, 0xffff0000, v26
	v_lshlrev_b32_e32 v74, 16, v26
	s_waitcnt vmcnt(9)
	v_and_b32_e32 v77, 0xffff0000, v30
	v_lshlrev_b32_e32 v76, 16, v30
	v_and_b32_e32 v81, 0xffff0000, v27
	v_lshlrev_b32_e32 v80, 16, v27
	;; [unrolled: 2-line block ×7, first 2 shown]
	global_load_dwordx4 v[26:29], v25, s[4:5]
	global_load_dwordx4 v[30:33], v25, s[4:5] offset:16
	s_waitcnt vmcnt(10)
	v_and_b32_e32 v79, 0xffff0000, v34
	v_lshlrev_b32_e32 v78, 16, v34
	v_and_b32_e32 v89, 0xffff0000, v35
	v_lshlrev_b32_e32 v88, 16, v35
	v_and_b32_e32 v35, 0xffff0000, v36
	v_lshlrev_b32_e32 v34, 16, v36
	v_and_b32_e32 v91, 0xffff0000, v37
	v_lshlrev_b32_e32 v90, 16, v37
	s_waitcnt vmcnt(9)
	v_and_b32_e32 v37, 0xffff0000, v38
	v_lshlrev_b32_e32 v36, 16, v38
	v_and_b32_e32 v93, 0xffff0000, v39
	v_lshlrev_b32_e32 v92, 16, v39
	v_and_b32_e32 v39, 0xffff0000, v40
	v_lshlrev_b32_e32 v38, 16, v40
	v_and_b32_e32 v95, 0xffff0000, v41
	v_lshlrev_b32_e32 v94, 16, v41
	;; [unrolled: 9-line block ×9, first 2 shown]
	s_waitcnt vmcnt(1)
	v_pk_mul_f32 v[68:69], v[26:27], v[70:71]
	v_add_f32_e32 v68, v24, v68
	v_pk_mul_f32 v[70:71], v[28:29], v[72:73]
	v_pk_mul_f32 v[72:73], v[26:27], v[74:75]
	;; [unrolled: 1-line block ×12, first 2 shown]
	v_add_f32_e32 v68, v68, v69
	v_add_f32_e32 v68, v68, v70
	;; [unrolled: 1-line block ×13, first 2 shown]
	v_pk_mul_f32 v[64:65], v[28:29], v[80:81]
	v_pk_mul_f32 v[78:79], v[28:29], v[82:83]
	;; [unrolled: 1-line block ×11, first 2 shown]
	s_waitcnt vmcnt(0)
	v_pk_mul_f32 v[6:7], v[30:31], v[6:7]
	v_add_f32_e32 v26, v68, v71
	v_add_f32_e32 v23, v23, v73
	;; [unrolled: 1-line block ×24, first 2 shown]
	v_pk_mul_f32 v[8:9], v[32:33], v[8:9]
	v_pk_mul_f32 v[24:25], v[30:31], v[84:85]
	;; [unrolled: 1-line block ×12, first 2 shown]
	v_add_f32_e32 v6, v6, v7
	v_add_f32_e32 v7, v23, v65
	v_add_f32_e32 v22, v22, v79
	v_add_f32_e32 v21, v21, v81
	v_add_f32_e32 v19, v19, v83
	v_add_f32_e32 v18, v18, v89
	v_add_f32_e32 v17, v17, v93
	v_add_f32_e32 v16, v16, v97
	v_add_f32_e32 v15, v15, v101
	v_add_f32_e32 v14, v14, v105
	v_add_f32_e32 v5, v5, v109
	v_add_f32_e32 v3, v3, v29
	v_add_f32_e32 v6, v6, v8
	v_add_f32_e32 v7, v7, v24
	v_add_f32_e32 v8, v22, v84
	v_add_f32_e32 v21, v21, v34
	v_add_f32_e32 v19, v19, v38
	v_add_f32_e32 v18, v18, v42
	v_add_f32_e32 v17, v17, v46
	v_add_f32_e32 v16, v16, v50
	v_add_f32_e32 v15, v15, v54
	v_add_f32_e32 v14, v14, v58
	v_add_f32_e32 v5, v5, v62
	v_add_f32_e32 v3, v3, v30
	v_pk_mul_f32 v[10:11], v[32:33], v[10:11]
	v_pk_mul_f32 v[12:13], v[32:33], v[12:13]
	;; [unrolled: 1-line block ×11, first 2 shown]
	v_add_f32_e32 v24, v6, v9
	v_add_f32_e32 v6, v7, v25
	;; [unrolled: 1-line block ×34, first 2 shown]
	s_cbranch_scc0 .LBB43_1
; %bb.2:
	v_mbcnt_lo_u32_b32 v1, -1, 0
	v_mbcnt_hi_u32_b32 v7, -1, v1
	v_and_b32_e32 v2, 64, v7
	v_xor_b32_e32 v1, 16, v7
	v_add_u32_e32 v8, 64, v2
	v_cmp_lt_i32_e32 vcc, v1, v8
	v_cndmask_b32_e32 v1, v7, v1, vcc
	v_lshlrev_b32_e32 v1, 2, v1
	ds_bpermute_b32 v4, v1, v24
	v_xor_b32_e32 v2, 8, v7
	v_cmp_lt_i32_e32 vcc, v2, v8
	v_cndmask_b32_e32 v2, v7, v2, vcc
	v_lshlrev_b32_e32 v2, 2, v2
	s_waitcnt lgkmcnt(0)
	v_add_f32_e32 v6, v24, v4
	ds_bpermute_b32 v9, v2, v6
	v_xor_b32_e32 v4, 4, v7
	v_cmp_lt_i32_e32 vcc, v4, v8
	v_cndmask_b32_e32 v4, v7, v4, vcc
	v_lshlrev_b32_e32 v4, 2, v4
	s_waitcnt lgkmcnt(0)
	v_add_f32_e32 v9, v6, v9
	;; [unrolled: 7-line block ×4, first 2 shown]
	ds_bpermute_b32 v10, v8, v9
	v_lshrrev_b32_e32 v7, 5, v0
	v_and_b32_e32 v11, 31, v0
	v_cmp_eq_u32_e32 vcc, 0, v11
	v_lshlrev_b32_e32 v7, 2, v7
	s_and_saveexec_b64 s[2:3], vcc
	s_cbranch_execz .LBB43_4
; %bb.3:
	s_waitcnt lgkmcnt(0)
	v_add_f32_e32 v9, v9, v10
	ds_write_b32 v7, v9
.LBB43_4:
	s_or_b64 exec, exec, s[2:3]
	ds_bpermute_b32 v9, v1, v23
	s_waitcnt lgkmcnt(0)
	v_add_f32_e32 v9, v23, v9
	ds_bpermute_b32 v10, v2, v9
	s_waitcnt lgkmcnt(0)
	v_add_f32_e32 v9, v9, v10
	ds_bpermute_b32 v10, v4, v9
	s_waitcnt lgkmcnt(0)
	v_add_f32_e32 v9, v9, v10
	ds_bpermute_b32 v10, v6, v9
	s_waitcnt lgkmcnt(0)
	v_add_f32_e32 v9, v9, v10
	ds_bpermute_b32 v10, v8, v9
	s_and_saveexec_b64 s[2:3], vcc
	s_cbranch_execz .LBB43_6
; %bb.5:
	s_waitcnt lgkmcnt(0)
	v_add_f32_e32 v9, v9, v10
	ds_write_b32 v7, v9 offset:16
.LBB43_6:
	s_or_b64 exec, exec, s[2:3]
	ds_bpermute_b32 v9, v1, v22
	s_waitcnt lgkmcnt(0)
	v_add_f32_e32 v9, v22, v9
	ds_bpermute_b32 v10, v2, v9
	s_waitcnt lgkmcnt(0)
	v_add_f32_e32 v9, v9, v10
	ds_bpermute_b32 v10, v4, v9
	s_waitcnt lgkmcnt(0)
	v_add_f32_e32 v9, v9, v10
	ds_bpermute_b32 v10, v6, v9
	s_waitcnt lgkmcnt(0)
	v_add_f32_e32 v9, v9, v10
	ds_bpermute_b32 v10, v8, v9
	s_and_saveexec_b64 s[2:3], vcc
	s_cbranch_execz .LBB43_8
; %bb.7:
	s_waitcnt lgkmcnt(0)
	v_add_f32_e32 v9, v9, v10
	ds_write_b32 v7, v9 offset:32
.LBB43_8:
	;; [unrolled: 21-line block ×11, first 2 shown]
	s_or_b64 exec, exec, s[2:3]
	v_cmp_eq_u32_e32 vcc, 0, v0
	s_waitcnt lgkmcnt(0)
	s_barrier
	s_and_saveexec_b64 s[2:3], vcc
	s_cbranch_execz .LBB43_28
; %bb.27:
	v_mov_b32_e32 v16, 0
	ds_read_b128 v[0:3], v16
	s_ashr_i32 s7, s6, 31
	ds_read_b128 v[4:7], v16 offset:16
	ds_read_b128 v[8:11], v16 offset:32
	;; [unrolled: 1-line block ×3, first 2 shown]
	s_lshl_b64 s[2:3], s[6:7], 2
	s_add_u32 s0, s0, s2
	s_waitcnt lgkmcnt(3)
	v_add_f32_e32 v0, 0, v0
	v_add_f32_e32 v0, v0, v1
	;; [unrolled: 1-line block ×4, first 2 shown]
	s_addc_u32 s1, s1, s3
	global_store_dword v16, v0, s[0:1]
	s_waitcnt lgkmcnt(2)
	v_add_f32_e32 v0, 0, v4
	v_add_f32_e32 v0, v0, v5
	;; [unrolled: 1-line block ×4, first 2 shown]
	global_store_dword v16, v0, s[0:1] offset:1024
	s_waitcnt lgkmcnt(1)
	v_add_f32_e32 v0, 0, v8
	v_add_f32_e32 v0, v0, v9
	;; [unrolled: 1-line block ×4, first 2 shown]
	global_store_dword v16, v0, s[0:1] offset:2048
	s_waitcnt lgkmcnt(0)
	v_add_f32_e32 v0, 0, v12
	v_add_f32_e32 v4, v0, v13
	ds_read_b128 v[0:3], v16 offset:64
	v_add_f32_e32 v4, v4, v14
	v_add_f32_e32 v4, v4, v15
	global_store_dword v16, v4, s[0:1] offset:3072
	ds_read_b128 v[4:7], v16 offset:80
	s_waitcnt lgkmcnt(1)
	v_add_f32_e32 v0, 0, v0
	v_add_f32_e32 v0, v0, v1
	;; [unrolled: 1-line block ×4, first 2 shown]
	v_mov_b32_e32 v8, 0x1000
	global_store_dword v8, v0, s[0:1]
	s_waitcnt lgkmcnt(0)
	v_add_f32_e32 v0, 0, v4
	v_add_f32_e32 v4, v0, v5
	ds_read_b128 v[0:3], v16 offset:96
	v_add_f32_e32 v4, v4, v6
	v_add_f32_e32 v4, v4, v7
	global_store_dword v8, v4, s[0:1] offset:1024
	ds_read_b128 v[4:7], v16 offset:112
	s_waitcnt lgkmcnt(1)
	v_add_f32_e32 v0, 0, v0
	v_add_f32_e32 v0, v0, v1
	v_add_f32_e32 v0, v0, v2
	v_add_f32_e32 v0, v0, v3
	global_store_dword v8, v0, s[0:1] offset:2048
	s_waitcnt lgkmcnt(0)
	v_add_f32_e32 v0, 0, v4
	v_add_f32_e32 v4, v0, v5
	ds_read_b128 v[0:3], v16 offset:128
	v_add_f32_e32 v4, v4, v6
	v_add_f32_e32 v4, v4, v7
	global_store_dword v8, v4, s[0:1] offset:3072
	ds_read_b128 v[4:7], v16 offset:144
	s_waitcnt lgkmcnt(1)
	v_add_f32_e32 v0, 0, v0
	v_add_f32_e32 v0, v0, v1
	;; [unrolled: 1-line block ×4, first 2 shown]
	v_mov_b32_e32 v12, 0x2000
	global_store_dword v12, v0, s[0:1]
	ds_read_b128 v[0:3], v16 offset:160
	ds_read_b128 v[8:11], v16 offset:176
	s_waitcnt lgkmcnt(2)
	v_add_f32_e32 v4, 0, v4
	v_add_f32_e32 v4, v4, v5
	;; [unrolled: 1-line block ×3, first 2 shown]
	s_waitcnt lgkmcnt(1)
	v_add_f32_e32 v0, 0, v0
	v_add_f32_e32 v0, v0, v1
	;; [unrolled: 1-line block ×4, first 2 shown]
	global_store_dword v12, v0, s[0:1] offset:2048
	s_waitcnt lgkmcnt(0)
	v_add_f32_e32 v0, 0, v8
	v_add_f32_e32 v0, v0, v9
	;; [unrolled: 1-line block ×5, first 2 shown]
	global_store_dword v12, v4, s[0:1] offset:1024
	global_store_dword v12, v0, s[0:1] offset:3072
.LBB43_28:
	s_endpgm
	.section	.rodata,"a",@progbits
	.p2align	6, 0x0
	.amdhsa_kernel _Z23fp32_router_gemm_kernelI14__hip_bfloat16Li128ELi12ELi256ELi3072EEvPfPKT_PKf
		.amdhsa_group_segment_fixed_size 192
		.amdhsa_private_segment_fixed_size 0
		.amdhsa_kernarg_size 24
		.amdhsa_user_sgpr_count 6
		.amdhsa_user_sgpr_private_segment_buffer 1
		.amdhsa_user_sgpr_dispatch_ptr 0
		.amdhsa_user_sgpr_queue_ptr 0
		.amdhsa_user_sgpr_kernarg_segment_ptr 1
		.amdhsa_user_sgpr_dispatch_id 0
		.amdhsa_user_sgpr_flat_scratch_init 0
		.amdhsa_user_sgpr_kernarg_preload_length 0
		.amdhsa_user_sgpr_kernarg_preload_offset 0
		.amdhsa_user_sgpr_private_segment_size 0
		.amdhsa_uses_dynamic_stack 0
		.amdhsa_system_sgpr_private_segment_wavefront_offset 0
		.amdhsa_system_sgpr_workgroup_id_x 1
		.amdhsa_system_sgpr_workgroup_id_y 0
		.amdhsa_system_sgpr_workgroup_id_z 0
		.amdhsa_system_sgpr_workgroup_info 0
		.amdhsa_system_vgpr_workitem_id 0
		.amdhsa_next_free_vgpr 124
		.amdhsa_next_free_sgpr 20
		.amdhsa_accum_offset 124
		.amdhsa_reserve_vcc 1
		.amdhsa_reserve_flat_scratch 0
		.amdhsa_float_round_mode_32 0
		.amdhsa_float_round_mode_16_64 0
		.amdhsa_float_denorm_mode_32 3
		.amdhsa_float_denorm_mode_16_64 3
		.amdhsa_dx10_clamp 1
		.amdhsa_ieee_mode 1
		.amdhsa_fp16_overflow 0
		.amdhsa_tg_split 0
		.amdhsa_exception_fp_ieee_invalid_op 0
		.amdhsa_exception_fp_denorm_src 0
		.amdhsa_exception_fp_ieee_div_zero 0
		.amdhsa_exception_fp_ieee_overflow 0
		.amdhsa_exception_fp_ieee_underflow 0
		.amdhsa_exception_fp_ieee_inexact 0
		.amdhsa_exception_int_div_zero 0
	.end_amdhsa_kernel
	.section	.text._Z23fp32_router_gemm_kernelI14__hip_bfloat16Li128ELi12ELi256ELi3072EEvPfPKT_PKf,"axG",@progbits,_Z23fp32_router_gemm_kernelI14__hip_bfloat16Li128ELi12ELi256ELi3072EEvPfPKT_PKf,comdat
.Lfunc_end43:
	.size	_Z23fp32_router_gemm_kernelI14__hip_bfloat16Li128ELi12ELi256ELi3072EEvPfPKT_PKf, .Lfunc_end43-_Z23fp32_router_gemm_kernelI14__hip_bfloat16Li128ELi12ELi256ELi3072EEvPfPKT_PKf
                                        ; -- End function
	.section	.AMDGPU.csdata,"",@progbits
; Kernel info:
; codeLenInByte = 3656
; NumSgprs: 24
; NumVgprs: 124
; NumAgprs: 0
; TotalNumVgprs: 124
; ScratchSize: 0
; MemoryBound: 0
; FloatMode: 240
; IeeeMode: 1
; LDSByteSize: 192 bytes/workgroup (compile time only)
; SGPRBlocks: 2
; VGPRBlocks: 15
; NumSGPRsForWavesPerEU: 24
; NumVGPRsForWavesPerEU: 124
; AccumOffset: 124
; Occupancy: 4
; WaveLimiterHint : 1
; COMPUTE_PGM_RSRC2:SCRATCH_EN: 0
; COMPUTE_PGM_RSRC2:USER_SGPR: 6
; COMPUTE_PGM_RSRC2:TRAP_HANDLER: 0
; COMPUTE_PGM_RSRC2:TGID_X_EN: 1
; COMPUTE_PGM_RSRC2:TGID_Y_EN: 0
; COMPUTE_PGM_RSRC2:TGID_Z_EN: 0
; COMPUTE_PGM_RSRC2:TIDIG_COMP_CNT: 0
; COMPUTE_PGM_RSRC3_GFX90A:ACCUM_OFFSET: 30
; COMPUTE_PGM_RSRC3_GFX90A:TG_SPLIT: 0
	.section	.text._Z23fp32_router_gemm_kernelI14__hip_bfloat16Li128ELi13ELi256ELi3072EEvPfPKT_PKf,"axG",@progbits,_Z23fp32_router_gemm_kernelI14__hip_bfloat16Li128ELi13ELi256ELi3072EEvPfPKT_PKf,comdat
	.protected	_Z23fp32_router_gemm_kernelI14__hip_bfloat16Li128ELi13ELi256ELi3072EEvPfPKT_PKf ; -- Begin function _Z23fp32_router_gemm_kernelI14__hip_bfloat16Li128ELi13ELi256ELi3072EEvPfPKT_PKf
	.globl	_Z23fp32_router_gemm_kernelI14__hip_bfloat16Li128ELi13ELi256ELi3072EEvPfPKT_PKf
	.p2align	8
	.type	_Z23fp32_router_gemm_kernelI14__hip_bfloat16Li128ELi13ELi256ELi3072EEvPfPKT_PKf,@function
_Z23fp32_router_gemm_kernelI14__hip_bfloat16Li128ELi13ELi256ELi3072EEvPfPKT_PKf: ; @_Z23fp32_router_gemm_kernelI14__hip_bfloat16Li128ELi13ELi256ELi3072EEvPfPKT_PKf
; %bb.0:
	s_load_dwordx4 s[0:3], s[4:5], 0x0
	s_load_dwordx2 s[8:9], s[4:5], 0x10
	s_mul_i32 s4, s6, 0xc00
	s_ashr_i32 s5, s4, 31
	s_lshl_b64 s[4:5], s[4:5], 2
	v_lshlrev_b32_e32 v62, 3, v0
	s_waitcnt lgkmcnt(0)
	s_add_u32 s4, s8, s4
	v_or_b32_e32 v1, 0x400, v62
	v_or_b32_e32 v64, 0x800, v62
	s_addc_u32 s5, s9, s5
	s_mov_b64 s[8:9], 0
	v_mov_b32_e32 v11, 0
	v_mov_b32_e32 v63, s3
	s_movk_i32 s7, 0x1000
	s_movk_i32 s10, 0x3000
	;; [unrolled: 1-line block ×5, first 2 shown]
	s_mov_b32 s14, 0x9000
	s_mov_b32 s15, 0xa000
	;; [unrolled: 1-line block ×7, first 2 shown]
	v_mov_b32_e32 v12, 0
	v_mov_b32_e32 v7, 0
	;; [unrolled: 1-line block ×12, first 2 shown]
.LBB44_1:                               ; =>This Inner Loop Header: Depth=1
	s_cmp_eq_u32 s8, 1
	s_cselect_b64 vcc, -1, 0
	s_cmp_eq_u32 s8, 2
	v_cndmask_b32_e32 v2, v62, v1, vcc
	s_cselect_b64 vcc, -1, 0
	v_cndmask_b32_e32 v2, v2, v64, vcc
	v_lshlrev_b32_e32 v9, 2, v2
	v_lshlrev_b32_e32 v13, 1, v2
	global_load_dwordx4 v[2:5], v9, s[4:5] offset:16
	global_load_dwordx4 v[58:61], v9, s[4:5]
	global_load_dwordx4 v[54:57], v13, s[2:3]
	v_add_co_u32_e32 v69, vcc, s2, v13
	v_addc_co_u32_e32 v70, vcc, 0, v63, vcc
	s_add_u32 s8, s8, 1
	s_addc_u32 s9, s9, 0
	s_cmp_eq_u32 s8, 3
	s_waitcnt vmcnt(0)
	v_and_b32_e32 v19, 0xffff0000, v54
	v_lshlrev_b32_e32 v18, 16, v54
	v_pk_mul_f32 v[18:19], v[58:59], v[18:19]
	v_add_f32_e32 v9, v11, v18
	v_add_co_u32_e32 v18, vcc, s7, v69
	v_add_f32_e32 v71, v9, v19
	v_addc_co_u32_e32 v19, vcc, 0, v70, vcc
	global_load_dwordx4 v[46:49], v[18:19], off offset:2048
	s_waitcnt vmcnt(0)
	v_and_b32_e32 v19, 0xffff0000, v46
	v_lshlrev_b32_e32 v18, 16, v46
	v_pk_mul_f32 v[18:19], v[58:59], v[18:19]
	v_add_f32_e32 v9, v12, v18
	v_add_co_u32_e32 v12, vcc, s10, v69
	v_addc_co_u32_e32 v13, vcc, 0, v70, vcc
	global_load_dwordx4 v[50:53], v[12:13], off
	v_add_f32_e32 v72, v9, v19
	s_waitcnt vmcnt(0)
	v_and_b32_e32 v13, 0xffff0000, v50
	v_lshlrev_b32_e32 v12, 16, v50
	v_pk_mul_f32 v[12:13], v[58:59], v[12:13]
	v_add_f32_e32 v7, v7, v12
	v_add_co_u32_e32 v12, vcc, s11, v69
	v_add_f32_e32 v50, v7, v13
	v_addc_co_u32_e32 v13, vcc, 0, v70, vcc
	global_load_dwordx4 v[42:45], v[12:13], off offset:2048
	s_waitcnt vmcnt(0)
	v_and_b32_e32 v13, 0xffff0000, v42
	v_lshlrev_b32_e32 v12, 16, v42
	v_pk_mul_f32 v[12:13], v[58:59], v[12:13]
	v_add_f32_e32 v6, v6, v12
	v_add_f32_e32 v73, v6, v13
	v_add_co_u32_e32 v6, vcc, s12, v69
	v_addc_co_u32_e32 v7, vcc, 0, v70, vcc
	global_load_dwordx4 v[38:41], v[6:7], off
	s_waitcnt vmcnt(0)
	v_and_b32_e32 v7, 0xffff0000, v38
	v_lshlrev_b32_e32 v6, 16, v38
	v_pk_mul_f32 v[6:7], v[58:59], v[6:7]
	v_add_f32_e32 v6, v8, v6
	v_add_f32_e32 v74, v6, v7
	v_add_co_u32_e32 v6, vcc, s13, v69
	v_addc_co_u32_e32 v7, vcc, 0, v70, vcc
	global_load_dwordx4 v[34:37], v[6:7], off offset:2048
	s_waitcnt vmcnt(0)
	v_and_b32_e32 v7, 0xffff0000, v34
	v_lshlrev_b32_e32 v6, 16, v34
	v_pk_mul_f32 v[6:7], v[58:59], v[6:7]
	v_add_f32_e32 v6, v10, v6
	v_add_f32_e32 v75, v6, v7
	v_add_co_u32_e32 v6, vcc, s14, v69
	v_addc_co_u32_e32 v7, vcc, 0, v70, vcc
	global_load_dwordx4 v[30:33], v[6:7], off
	s_waitcnt vmcnt(0)
	v_and_b32_e32 v7, 0xffff0000, v30
	v_lshlrev_b32_e32 v6, 16, v30
	v_pk_mul_f32 v[6:7], v[58:59], v[6:7]
	v_add_f32_e32 v6, v14, v6
	v_add_f32_e32 v76, v6, v7
	v_add_co_u32_e32 v6, vcc, s15, v69
	;; [unrolled: 18-line block ×4, first 2 shown]
	v_addc_co_u32_e32 v7, vcc, 0, v70, vcc
	global_load_dwordx4 v[10:13], v[6:7], off offset:2048
	s_waitcnt vmcnt(0)
	v_and_b32_e32 v7, 0xffff0000, v10
	v_lshlrev_b32_e32 v6, 16, v10
	v_pk_mul_f32 v[6:7], v[58:59], v[6:7]
	v_add_f32_e32 v6, v67, v6
	v_add_f32_e32 v80, v6, v7
	v_add_co_u32_e32 v6, vcc, s20, v69
	v_addc_co_u32_e32 v7, vcc, 0, v70, vcc
	global_load_dwordx4 v[6:9], v[6:7], off
	s_waitcnt vmcnt(0)
	v_and_b32_e32 v67, 0xffff0000, v6
	v_lshlrev_b32_e32 v66, 16, v6
	v_pk_mul_f32 v[58:59], v[58:59], v[66:67]
	v_add_f32_e32 v6, v68, v58
	v_add_f32_e32 v66, v6, v59
	v_and_b32_e32 v59, 0xffff0000, v55
	v_lshlrev_b32_e32 v58, 16, v55
	v_pk_mul_f32 v[54:55], v[60:61], v[58:59]
	v_add_f32_e32 v6, v71, v54
	v_add_f32_e32 v58, v6, v55
	;; [unrolled: 5-line block ×26, first 2 shown]
	v_and_b32_e32 v7, 0xffff0000, v8
	v_lshlrev_b32_e32 v6, 16, v8
	v_pk_mul_f32 v[2:3], v[2:3], v[6:7]
	v_and_b32_e32 v7, 0xffff0000, v57
	v_lshlrev_b32_e32 v6, 16, v57
	v_add_f32_e32 v2, v10, v2
	v_pk_mul_f32 v[6:7], v[4:5], v[6:7]
	v_add_f32_e32 v2, v2, v3
	v_add_f32_e32 v3, v11, v6
	;; [unrolled: 1-line block ×3, first 2 shown]
	v_and_b32_e32 v7, 0xffff0000, v49
	v_lshlrev_b32_e32 v6, 16, v49
	v_pk_mul_f32 v[6:7], v[4:5], v[6:7]
	v_add_f32_e32 v3, v27, v6
	v_add_f32_e32 v12, v3, v7
	v_and_b32_e32 v7, 0xffff0000, v53
	v_lshlrev_b32_e32 v6, 16, v53
	v_pk_mul_f32 v[6:7], v[4:5], v[6:7]
	v_and_b32_e32 v27, 0xffff0000, v45
	v_lshlrev_b32_e32 v26, 16, v45
	v_add_f32_e32 v3, v31, v6
	v_pk_mul_f32 v[26:27], v[4:5], v[26:27]
	v_add_f32_e32 v7, v3, v7
	v_add_f32_e32 v3, v35, v26
	v_add_f32_e32 v6, v3, v27
	v_and_b32_e32 v27, 0xffff0000, v41
	v_lshlrev_b32_e32 v26, 16, v41
	v_pk_mul_f32 v[26:27], v[4:5], v[26:27]
	v_add_f32_e32 v3, v39, v26
	v_add_f32_e32 v8, v3, v27
	v_and_b32_e32 v27, 0xffff0000, v37
	v_lshlrev_b32_e32 v26, 16, v37
	v_pk_mul_f32 v[26:27], v[4:5], v[26:27]
	v_add_f32_e32 v3, v36, v26
	v_add_f32_e32 v10, v3, v27
	;; [unrolled: 5-line block ×4, first 2 shown]
	v_and_b32_e32 v27, 0xffff0000, v25
	v_lshlrev_b32_e32 v26, 16, v25
	v_pk_mul_f32 v[24:25], v[4:5], v[26:27]
	v_add_f32_e32 v3, v22, v24
	v_and_b32_e32 v23, 0xffff0000, v21
	v_lshlrev_b32_e32 v22, 16, v21
	v_pk_mul_f32 v[22:23], v[4:5], v[22:23]
	v_add_f32_e32 v16, v3, v25
	v_add_f32_e32 v3, v20, v22
	v_and_b32_e32 v21, 0xffff0000, v17
	v_lshlrev_b32_e32 v20, 16, v17
	v_pk_mul_f32 v[20:21], v[4:5], v[20:21]
	v_add_f32_e32 v65, v3, v23
	v_add_f32_e32 v3, v19, v20
	;; [unrolled: 1-line block ×3, first 2 shown]
	v_and_b32_e32 v21, 0xffff0000, v13
	v_lshlrev_b32_e32 v20, 16, v13
	v_pk_mul_f32 v[20:21], v[4:5], v[20:21]
	v_add_f32_e32 v3, v18, v20
	v_and_b32_e32 v19, 0xffff0000, v9
	v_lshlrev_b32_e32 v18, 16, v9
	v_pk_mul_f32 v[4:5], v[4:5], v[18:19]
	v_add_f32_e32 v2, v2, v4
	v_add_f32_e32 v67, v3, v21
	v_add_f32_e32 v68, v2, v5
	s_cbranch_scc0 .LBB44_1
; %bb.2:
	v_mbcnt_lo_u32_b32 v1, -1, 0
	v_mbcnt_hi_u32_b32 v5, -1, v1
	v_and_b32_e32 v2, 64, v5
	v_xor_b32_e32 v1, 16, v5
	v_add_u32_e32 v9, 64, v2
	v_cmp_lt_i32_e32 vcc, v1, v9
	v_cndmask_b32_e32 v1, v5, v1, vcc
	v_lshlrev_b32_e32 v1, 2, v1
	ds_bpermute_b32 v3, v1, v11
	v_xor_b32_e32 v2, 8, v5
	v_cmp_lt_i32_e32 vcc, v2, v9
	v_cndmask_b32_e32 v2, v5, v2, vcc
	v_lshlrev_b32_e32 v2, 2, v2
	s_waitcnt lgkmcnt(0)
	v_add_f32_e32 v4, v11, v3
	ds_bpermute_b32 v11, v2, v4
	v_xor_b32_e32 v3, 4, v5
	v_cmp_lt_i32_e32 vcc, v3, v9
	v_cndmask_b32_e32 v3, v5, v3, vcc
	v_lshlrev_b32_e32 v3, 2, v3
	s_waitcnt lgkmcnt(0)
	v_add_f32_e32 v11, v4, v11
	;; [unrolled: 7-line block ×4, first 2 shown]
	ds_bpermute_b32 v13, v9, v11
	v_lshrrev_b32_e32 v5, 5, v0
	v_and_b32_e32 v17, 31, v0
	v_cmp_eq_u32_e32 vcc, 0, v17
	v_lshlrev_b32_e32 v5, 2, v5
	s_and_saveexec_b64 s[2:3], vcc
	s_cbranch_execz .LBB44_4
; %bb.3:
	s_waitcnt lgkmcnt(0)
	v_add_f32_e32 v11, v11, v13
	ds_write_b32 v5, v11
.LBB44_4:
	s_or_b64 exec, exec, s[2:3]
	ds_bpermute_b32 v11, v1, v12
	s_waitcnt lgkmcnt(0)
	v_add_f32_e32 v11, v12, v11
	ds_bpermute_b32 v12, v2, v11
	s_waitcnt lgkmcnt(0)
	v_add_f32_e32 v11, v11, v12
	ds_bpermute_b32 v12, v3, v11
	s_waitcnt lgkmcnt(0)
	v_add_f32_e32 v11, v11, v12
	ds_bpermute_b32 v12, v4, v11
	s_waitcnt lgkmcnt(0)
	v_add_f32_e32 v11, v11, v12
	ds_bpermute_b32 v12, v9, v11
	s_and_saveexec_b64 s[2:3], vcc
	s_cbranch_execz .LBB44_6
; %bb.5:
	s_waitcnt lgkmcnt(0)
	v_add_f32_e32 v11, v11, v12
	ds_write_b32 v5, v11 offset:16
.LBB44_6:
	s_or_b64 exec, exec, s[2:3]
	ds_bpermute_b32 v11, v1, v7
	s_waitcnt lgkmcnt(0)
	v_add_f32_e32 v7, v7, v11
	ds_bpermute_b32 v11, v2, v7
	s_waitcnt lgkmcnt(0)
	v_add_f32_e32 v7, v7, v11
	ds_bpermute_b32 v11, v3, v7
	s_waitcnt lgkmcnt(0)
	v_add_f32_e32 v7, v7, v11
	ds_bpermute_b32 v11, v4, v7
	s_waitcnt lgkmcnt(0)
	v_add_f32_e32 v7, v7, v11
	ds_bpermute_b32 v11, v9, v7
	s_and_saveexec_b64 s[2:3], vcc
	s_cbranch_execz .LBB44_8
; %bb.7:
	s_waitcnt lgkmcnt(0)
	v_add_f32_e32 v7, v7, v11
	ds_write_b32 v5, v7 offset:32
.LBB44_8:
	;; [unrolled: 21-line block ×12, first 2 shown]
	s_or_b64 exec, exec, s[2:3]
	v_cmp_eq_u32_e32 vcc, 0, v0
	s_waitcnt lgkmcnt(0)
	s_barrier
	s_and_saveexec_b64 s[2:3], vcc
	s_cbranch_execz .LBB44_30
; %bb.29:
	v_mov_b32_e32 v16, 0
	ds_read_b128 v[0:3], v16
	s_ashr_i32 s7, s6, 31
	ds_read_b128 v[4:7], v16 offset:16
	ds_read_b128 v[8:11], v16 offset:32
	;; [unrolled: 1-line block ×3, first 2 shown]
	s_lshl_b64 s[2:3], s[6:7], 2
	s_add_u32 s0, s0, s2
	s_waitcnt lgkmcnt(3)
	v_add_f32_e32 v0, 0, v0
	v_add_f32_e32 v0, v0, v1
	;; [unrolled: 1-line block ×4, first 2 shown]
	s_addc_u32 s1, s1, s3
	global_store_dword v16, v0, s[0:1]
	s_waitcnt lgkmcnt(2)
	v_add_f32_e32 v0, 0, v4
	v_add_f32_e32 v0, v0, v5
	;; [unrolled: 1-line block ×4, first 2 shown]
	global_store_dword v16, v0, s[0:1] offset:1024
	s_waitcnt lgkmcnt(1)
	v_add_f32_e32 v0, 0, v8
	v_add_f32_e32 v0, v0, v9
	;; [unrolled: 1-line block ×4, first 2 shown]
	global_store_dword v16, v0, s[0:1] offset:2048
	s_waitcnt lgkmcnt(0)
	v_add_f32_e32 v0, 0, v12
	v_add_f32_e32 v4, v0, v13
	ds_read_b128 v[0:3], v16 offset:64
	v_add_f32_e32 v4, v4, v14
	v_add_f32_e32 v4, v4, v15
	global_store_dword v16, v4, s[0:1] offset:3072
	ds_read_b128 v[4:7], v16 offset:80
	s_waitcnt lgkmcnt(1)
	v_add_f32_e32 v0, 0, v0
	v_add_f32_e32 v0, v0, v1
	v_add_f32_e32 v0, v0, v2
	v_add_f32_e32 v0, v0, v3
	v_mov_b32_e32 v8, 0x1000
	global_store_dword v8, v0, s[0:1]
	s_waitcnt lgkmcnt(0)
	v_add_f32_e32 v0, 0, v4
	v_add_f32_e32 v4, v0, v5
	ds_read_b128 v[0:3], v16 offset:96
	v_add_f32_e32 v4, v4, v6
	v_add_f32_e32 v4, v4, v7
	global_store_dword v8, v4, s[0:1] offset:1024
	ds_read_b128 v[4:7], v16 offset:112
	s_waitcnt lgkmcnt(1)
	v_add_f32_e32 v0, 0, v0
	v_add_f32_e32 v0, v0, v1
	;; [unrolled: 1-line block ×4, first 2 shown]
	global_store_dword v8, v0, s[0:1] offset:2048
	s_waitcnt lgkmcnt(0)
	v_add_f32_e32 v0, 0, v4
	v_add_f32_e32 v4, v0, v5
	ds_read_b128 v[0:3], v16 offset:128
	v_add_f32_e32 v4, v4, v6
	v_add_f32_e32 v4, v4, v7
	global_store_dword v8, v4, s[0:1] offset:3072
	ds_read_b128 v[4:7], v16 offset:144
	s_waitcnt lgkmcnt(1)
	v_add_f32_e32 v0, 0, v0
	v_add_f32_e32 v0, v0, v1
	v_add_f32_e32 v0, v0, v2
	v_add_f32_e32 v0, v0, v3
	v_mov_b32_e32 v17, 0x2000
	global_store_dword v17, v0, s[0:1]
	ds_read_b128 v[0:3], v16 offset:160
	ds_read_b128 v[8:11], v16 offset:176
	;; [unrolled: 1-line block ×3, first 2 shown]
	s_waitcnt lgkmcnt(3)
	v_add_f32_e32 v4, 0, v4
	v_add_f32_e32 v4, v4, v5
	s_waitcnt lgkmcnt(2)
	v_add_f32_e32 v0, 0, v0
	v_add_f32_e32 v0, v0, v1
	;; [unrolled: 1-line block ×4, first 2 shown]
	global_store_dword v17, v0, s[0:1] offset:2048
	s_waitcnt lgkmcnt(1)
	v_add_f32_e32 v0, 0, v8
	v_add_f32_e32 v0, v0, v9
	;; [unrolled: 1-line block ×4, first 2 shown]
	global_store_dword v17, v0, s[0:1] offset:3072
	s_waitcnt lgkmcnt(0)
	v_add_f32_e32 v0, 0, v12
	v_add_f32_e32 v0, v0, v13
	;; [unrolled: 1-line block ×6, first 2 shown]
	v_mov_b32_e32 v1, 0x3000
	global_store_dword v17, v4, s[0:1] offset:1024
	global_store_dword v1, v0, s[0:1]
.LBB44_30:
	s_endpgm
	.section	.rodata,"a",@progbits
	.p2align	6, 0x0
	.amdhsa_kernel _Z23fp32_router_gemm_kernelI14__hip_bfloat16Li128ELi13ELi256ELi3072EEvPfPKT_PKf
		.amdhsa_group_segment_fixed_size 208
		.amdhsa_private_segment_fixed_size 0
		.amdhsa_kernarg_size 24
		.amdhsa_user_sgpr_count 6
		.amdhsa_user_sgpr_private_segment_buffer 1
		.amdhsa_user_sgpr_dispatch_ptr 0
		.amdhsa_user_sgpr_queue_ptr 0
		.amdhsa_user_sgpr_kernarg_segment_ptr 1
		.amdhsa_user_sgpr_dispatch_id 0
		.amdhsa_user_sgpr_flat_scratch_init 0
		.amdhsa_user_sgpr_kernarg_preload_length 0
		.amdhsa_user_sgpr_kernarg_preload_offset 0
		.amdhsa_user_sgpr_private_segment_size 0
		.amdhsa_uses_dynamic_stack 0
		.amdhsa_system_sgpr_private_segment_wavefront_offset 0
		.amdhsa_system_sgpr_workgroup_id_x 1
		.amdhsa_system_sgpr_workgroup_id_y 0
		.amdhsa_system_sgpr_workgroup_id_z 0
		.amdhsa_system_sgpr_workgroup_info 0
		.amdhsa_system_vgpr_workitem_id 0
		.amdhsa_next_free_vgpr 81
		.amdhsa_next_free_sgpr 21
		.amdhsa_accum_offset 84
		.amdhsa_reserve_vcc 1
		.amdhsa_reserve_flat_scratch 0
		.amdhsa_float_round_mode_32 0
		.amdhsa_float_round_mode_16_64 0
		.amdhsa_float_denorm_mode_32 3
		.amdhsa_float_denorm_mode_16_64 3
		.amdhsa_dx10_clamp 1
		.amdhsa_ieee_mode 1
		.amdhsa_fp16_overflow 0
		.amdhsa_tg_split 0
		.amdhsa_exception_fp_ieee_invalid_op 0
		.amdhsa_exception_fp_denorm_src 0
		.amdhsa_exception_fp_ieee_div_zero 0
		.amdhsa_exception_fp_ieee_overflow 0
		.amdhsa_exception_fp_ieee_underflow 0
		.amdhsa_exception_fp_ieee_inexact 0
		.amdhsa_exception_int_div_zero 0
	.end_amdhsa_kernel
	.section	.text._Z23fp32_router_gemm_kernelI14__hip_bfloat16Li128ELi13ELi256ELi3072EEvPfPKT_PKf,"axG",@progbits,_Z23fp32_router_gemm_kernelI14__hip_bfloat16Li128ELi13ELi256ELi3072EEvPfPKT_PKf,comdat
.Lfunc_end44:
	.size	_Z23fp32_router_gemm_kernelI14__hip_bfloat16Li128ELi13ELi256ELi3072EEvPfPKT_PKf, .Lfunc_end44-_Z23fp32_router_gemm_kernelI14__hip_bfloat16Li128ELi13ELi256ELi3072EEvPfPKT_PKf
                                        ; -- End function
	.section	.AMDGPU.csdata,"",@progbits
; Kernel info:
; codeLenInByte = 3936
; NumSgprs: 25
; NumVgprs: 81
; NumAgprs: 0
; TotalNumVgprs: 81
; ScratchSize: 0
; MemoryBound: 0
; FloatMode: 240
; IeeeMode: 1
; LDSByteSize: 208 bytes/workgroup (compile time only)
; SGPRBlocks: 3
; VGPRBlocks: 10
; NumSGPRsForWavesPerEU: 25
; NumVGPRsForWavesPerEU: 81
; AccumOffset: 84
; Occupancy: 5
; WaveLimiterHint : 1
; COMPUTE_PGM_RSRC2:SCRATCH_EN: 0
; COMPUTE_PGM_RSRC2:USER_SGPR: 6
; COMPUTE_PGM_RSRC2:TRAP_HANDLER: 0
; COMPUTE_PGM_RSRC2:TGID_X_EN: 1
; COMPUTE_PGM_RSRC2:TGID_Y_EN: 0
; COMPUTE_PGM_RSRC2:TGID_Z_EN: 0
; COMPUTE_PGM_RSRC2:TIDIG_COMP_CNT: 0
; COMPUTE_PGM_RSRC3_GFX90A:ACCUM_OFFSET: 20
; COMPUTE_PGM_RSRC3_GFX90A:TG_SPLIT: 0
	.section	.text._Z23fp32_router_gemm_kernelI14__hip_bfloat16Li128ELi14ELi256ELi3072EEvPfPKT_PKf,"axG",@progbits,_Z23fp32_router_gemm_kernelI14__hip_bfloat16Li128ELi14ELi256ELi3072EEvPfPKT_PKf,comdat
	.protected	_Z23fp32_router_gemm_kernelI14__hip_bfloat16Li128ELi14ELi256ELi3072EEvPfPKT_PKf ; -- Begin function _Z23fp32_router_gemm_kernelI14__hip_bfloat16Li128ELi14ELi256ELi3072EEvPfPKT_PKf
	.globl	_Z23fp32_router_gemm_kernelI14__hip_bfloat16Li128ELi14ELi256ELi3072EEvPfPKT_PKf
	.p2align	8
	.type	_Z23fp32_router_gemm_kernelI14__hip_bfloat16Li128ELi14ELi256ELi3072EEvPfPKT_PKf,@function
_Z23fp32_router_gemm_kernelI14__hip_bfloat16Li128ELi14ELi256ELi3072EEvPfPKT_PKf: ; @_Z23fp32_router_gemm_kernelI14__hip_bfloat16Li128ELi14ELi256ELi3072EEvPfPKT_PKf
; %bb.0:
	s_load_dwordx4 s[0:3], s[4:5], 0x0
	s_load_dwordx2 s[8:9], s[4:5], 0x10
	s_mul_i32 s4, s6, 0xc00
	s_ashr_i32 s5, s4, 31
	s_lshl_b64 s[4:5], s[4:5], 2
	v_lshlrev_b32_e32 v66, 3, v0
	s_waitcnt lgkmcnt(0)
	s_add_u32 s4, s8, s4
	v_or_b32_e32 v1, 0x400, v66
	v_or_b32_e32 v68, 0x800, v66
	s_addc_u32 s5, s9, s5
	s_mov_b64 s[8:9], 0
	v_mov_b32_e32 v12, 0
	v_mov_b32_e32 v67, s3
	s_movk_i32 s7, 0x1000
	s_movk_i32 s10, 0x3000
	;; [unrolled: 1-line block ×5, first 2 shown]
	s_mov_b32 s14, 0x9000
	s_mov_b32 s15, 0xa000
	;; [unrolled: 1-line block ×8, first 2 shown]
	v_mov_b32_e32 v15, 0
	v_mov_b32_e32 v10, 0
	;; [unrolled: 1-line block ×13, first 2 shown]
.LBB45_1:                               ; =>This Inner Loop Header: Depth=1
	s_cmp_eq_u32 s8, 1
	s_cselect_b64 vcc, -1, 0
	s_cmp_eq_u32 s8, 2
	v_cndmask_b32_e32 v2, v66, v1, vcc
	s_cselect_b64 vcc, -1, 0
	v_cndmask_b32_e32 v2, v2, v68, vcc
	v_lshlrev_b32_e32 v9, 2, v2
	v_lshlrev_b32_e32 v13, 1, v2
	global_load_dwordx4 v[2:5], v9, s[4:5] offset:16
	global_load_dwordx4 v[62:65], v9, s[4:5]
	global_load_dwordx4 v[58:61], v13, s[2:3]
	v_add_co_u32_e32 v73, vcc, s2, v13
	v_addc_co_u32_e32 v74, vcc, 0, v67, vcc
	s_add_u32 s8, s8, 1
	s_addc_u32 s9, s9, 0
	s_cmp_eq_u32 s8, 3
	s_waitcnt vmcnt(0)
	v_and_b32_e32 v21, 0xffff0000, v58
	v_lshlrev_b32_e32 v20, 16, v58
	v_pk_mul_f32 v[20:21], v[62:63], v[20:21]
	v_add_f32_e32 v9, v12, v20
	v_add_co_u32_e32 v12, vcc, s7, v73
	v_addc_co_u32_e32 v13, vcc, 0, v74, vcc
	global_load_dwordx4 v[46:49], v[12:13], off offset:2048
	v_add_f32_e32 v75, v9, v21
	s_waitcnt vmcnt(0)
	v_and_b32_e32 v13, 0xffff0000, v46
	v_lshlrev_b32_e32 v12, 16, v46
	v_pk_mul_f32 v[12:13], v[62:63], v[12:13]
	v_add_f32_e32 v9, v15, v12
	v_add_co_u32_e32 v12, vcc, s10, v73
	v_add_f32_e32 v76, v9, v13
	v_addc_co_u32_e32 v13, vcc, 0, v74, vcc
	global_load_dwordx4 v[50:53], v[12:13], off
	s_waitcnt vmcnt(0)
	v_and_b32_e32 v13, 0xffff0000, v50
	v_lshlrev_b32_e32 v12, 16, v50
	v_pk_mul_f32 v[12:13], v[62:63], v[12:13]
	v_add_f32_e32 v9, v10, v12
	v_add_co_u32_e32 v12, vcc, s11, v73
	v_add_f32_e32 v50, v9, v13
	v_addc_co_u32_e32 v13, vcc, 0, v74, vcc
	global_load_dwordx4 v[54:57], v[12:13], off offset:2048
	s_waitcnt vmcnt(0)
	v_and_b32_e32 v13, 0xffff0000, v54
	v_lshlrev_b32_e32 v12, 16, v54
	v_pk_mul_f32 v[12:13], v[62:63], v[12:13]
	v_add_f32_e32 v6, v6, v12
	v_add_co_u32_e32 v12, vcc, s12, v73
	v_add_f32_e32 v54, v6, v13
	v_addc_co_u32_e32 v13, vcc, 0, v74, vcc
	global_load_dwordx4 v[42:45], v[12:13], off
	s_waitcnt vmcnt(0)
	v_and_b32_e32 v13, 0xffff0000, v42
	v_lshlrev_b32_e32 v12, 16, v42
	v_pk_mul_f32 v[12:13], v[62:63], v[12:13]
	v_add_f32_e32 v6, v7, v12
	v_add_f32_e32 v77, v6, v13
	v_add_co_u32_e32 v6, vcc, s13, v73
	v_addc_co_u32_e32 v7, vcc, 0, v74, vcc
	global_load_dwordx4 v[38:41], v[6:7], off offset:2048
	s_waitcnt vmcnt(0)
	v_and_b32_e32 v7, 0xffff0000, v38
	v_lshlrev_b32_e32 v6, 16, v38
	v_pk_mul_f32 v[6:7], v[62:63], v[6:7]
	v_add_f32_e32 v6, v8, v6
	v_add_f32_e32 v78, v6, v7
	v_add_co_u32_e32 v6, vcc, s14, v73
	v_addc_co_u32_e32 v7, vcc, 0, v74, vcc
	global_load_dwordx4 v[34:37], v[6:7], off
	s_waitcnt vmcnt(0)
	v_and_b32_e32 v7, 0xffff0000, v34
	v_lshlrev_b32_e32 v6, 16, v34
	v_pk_mul_f32 v[6:7], v[62:63], v[6:7]
	v_add_f32_e32 v6, v11, v6
	v_add_f32_e32 v79, v6, v7
	v_add_co_u32_e32 v6, vcc, s15, v73
	v_addc_co_u32_e32 v7, vcc, 0, v74, vcc
	global_load_dwordx4 v[30:33], v[6:7], off offset:2048
	s_waitcnt vmcnt(0)
	v_and_b32_e32 v7, 0xffff0000, v30
	v_lshlrev_b32_e32 v6, 16, v30
	v_pk_mul_f32 v[6:7], v[62:63], v[6:7]
	v_add_f32_e32 v6, v14, v6
	v_add_f32_e32 v80, v6, v7
	v_add_co_u32_e32 v6, vcc, s16, v73
	;; [unrolled: 18-line block ×4, first 2 shown]
	v_addc_co_u32_e32 v7, vcc, 0, v74, vcc
	global_load_dwordx4 v[10:13], v[6:7], off
	s_waitcnt vmcnt(0)
	v_and_b32_e32 v7, 0xffff0000, v10
	v_lshlrev_b32_e32 v6, 16, v10
	v_pk_mul_f32 v[6:7], v[62:63], v[6:7]
	v_add_f32_e32 v6, v71, v6
	v_add_f32_e32 v84, v6, v7
	v_add_co_u32_e32 v6, vcc, s21, v73
	v_addc_co_u32_e32 v7, vcc, 0, v74, vcc
	global_load_dwordx4 v[6:9], v[6:7], off offset:2048
	s_waitcnt vmcnt(0)
	v_and_b32_e32 v71, 0xffff0000, v6
	v_lshlrev_b32_e32 v70, 16, v6
	v_pk_mul_f32 v[62:63], v[62:63], v[70:71]
	v_add_f32_e32 v6, v72, v62
	v_add_f32_e32 v70, v6, v63
	v_and_b32_e32 v63, 0xffff0000, v59
	v_lshlrev_b32_e32 v62, 16, v59
	v_pk_mul_f32 v[58:59], v[64:65], v[62:63]
	v_add_f32_e32 v6, v75, v58
	v_add_f32_e32 v62, v6, v59
	;; [unrolled: 5-line block ×28, first 2 shown]
	v_and_b32_e32 v7, 0xffff0000, v8
	v_lshlrev_b32_e32 v6, 16, v8
	v_pk_mul_f32 v[2:3], v[2:3], v[6:7]
	v_and_b32_e32 v7, 0xffff0000, v61
	v_lshlrev_b32_e32 v6, 16, v61
	v_add_f32_e32 v2, v10, v2
	v_pk_mul_f32 v[6:7], v[4:5], v[6:7]
	v_add_f32_e32 v2, v2, v3
	v_add_f32_e32 v3, v11, v6
	;; [unrolled: 1-line block ×3, first 2 shown]
	v_and_b32_e32 v7, 0xffff0000, v49
	v_lshlrev_b32_e32 v6, 16, v49
	v_pk_mul_f32 v[6:7], v[4:5], v[6:7]
	v_add_f32_e32 v3, v27, v6
	v_add_f32_e32 v15, v3, v7
	v_and_b32_e32 v7, 0xffff0000, v53
	v_lshlrev_b32_e32 v6, 16, v53
	v_pk_mul_f32 v[6:7], v[4:5], v[6:7]
	v_add_f32_e32 v3, v31, v6
	v_add_f32_e32 v10, v3, v7
	v_and_b32_e32 v7, 0xffff0000, v57
	v_lshlrev_b32_e32 v6, 16, v57
	v_pk_mul_f32 v[6:7], v[4:5], v[6:7]
	v_and_b32_e32 v27, 0xffff0000, v45
	v_lshlrev_b32_e32 v26, 16, v45
	v_add_f32_e32 v3, v35, v6
	v_pk_mul_f32 v[26:27], v[4:5], v[26:27]
	v_add_f32_e32 v6, v3, v7
	v_add_f32_e32 v3, v39, v26
	;; [unrolled: 1-line block ×3, first 2 shown]
	v_and_b32_e32 v27, 0xffff0000, v41
	v_lshlrev_b32_e32 v26, 16, v41
	v_pk_mul_f32 v[26:27], v[4:5], v[26:27]
	v_add_f32_e32 v3, v40, v26
	v_add_f32_e32 v8, v3, v27
	v_and_b32_e32 v27, 0xffff0000, v37
	v_lshlrev_b32_e32 v26, 16, v37
	v_pk_mul_f32 v[26:27], v[4:5], v[26:27]
	v_add_f32_e32 v3, v36, v26
	v_add_f32_e32 v11, v3, v27
	;; [unrolled: 5-line block ×5, first 2 shown]
	v_and_b32_e32 v25, 0xffff0000, v21
	v_lshlrev_b32_e32 v24, 16, v21
	v_pk_mul_f32 v[24:25], v[4:5], v[24:25]
	v_add_f32_e32 v3, v22, v24
	v_and_b32_e32 v23, 0xffff0000, v17
	v_lshlrev_b32_e32 v22, 16, v17
	v_pk_mul_f32 v[22:23], v[4:5], v[22:23]
	v_add_f32_e32 v69, v3, v25
	v_add_f32_e32 v3, v20, v22
	v_and_b32_e32 v21, 0xffff0000, v13
	v_lshlrev_b32_e32 v20, 16, v13
	v_pk_mul_f32 v[20:21], v[4:5], v[20:21]
	v_add_f32_e32 v70, v3, v23
	v_add_f32_e32 v3, v19, v20
	;; [unrolled: 1-line block ×3, first 2 shown]
	v_and_b32_e32 v21, 0xffff0000, v9
	v_lshlrev_b32_e32 v20, 16, v9
	v_pk_mul_f32 v[4:5], v[4:5], v[20:21]
	v_add_f32_e32 v2, v2, v4
	v_add_f32_e32 v72, v2, v5
	s_cbranch_scc0 .LBB45_1
; %bb.2:
	v_mbcnt_lo_u32_b32 v1, -1, 0
	v_mbcnt_hi_u32_b32 v5, -1, v1
	v_and_b32_e32 v2, 64, v5
	v_xor_b32_e32 v1, 16, v5
	v_add_u32_e32 v9, 64, v2
	v_cmp_lt_i32_e32 vcc, v1, v9
	v_cndmask_b32_e32 v1, v5, v1, vcc
	v_lshlrev_b32_e32 v1, 2, v1
	ds_bpermute_b32 v3, v1, v12
	v_xor_b32_e32 v2, 8, v5
	v_cmp_lt_i32_e32 vcc, v2, v9
	v_cndmask_b32_e32 v2, v5, v2, vcc
	v_lshlrev_b32_e32 v2, 2, v2
	s_waitcnt lgkmcnt(0)
	v_add_f32_e32 v4, v12, v3
	ds_bpermute_b32 v12, v2, v4
	v_xor_b32_e32 v3, 4, v5
	v_cmp_lt_i32_e32 vcc, v3, v9
	v_cndmask_b32_e32 v3, v5, v3, vcc
	v_lshlrev_b32_e32 v3, 2, v3
	s_waitcnt lgkmcnt(0)
	v_add_f32_e32 v12, v4, v12
	;; [unrolled: 7-line block ×4, first 2 shown]
	ds_bpermute_b32 v13, v9, v12
	v_lshrrev_b32_e32 v5, 5, v0
	v_and_b32_e32 v17, 31, v0
	v_cmp_eq_u32_e32 vcc, 0, v17
	v_lshlrev_b32_e32 v5, 2, v5
	s_and_saveexec_b64 s[2:3], vcc
	s_cbranch_execz .LBB45_4
; %bb.3:
	s_waitcnt lgkmcnt(0)
	v_add_f32_e32 v12, v12, v13
	ds_write_b32 v5, v12
.LBB45_4:
	s_or_b64 exec, exec, s[2:3]
	ds_bpermute_b32 v12, v1, v15
	s_waitcnt lgkmcnt(0)
	v_add_f32_e32 v12, v15, v12
	ds_bpermute_b32 v13, v2, v12
	s_waitcnt lgkmcnt(0)
	v_add_f32_e32 v12, v12, v13
	ds_bpermute_b32 v13, v3, v12
	s_waitcnt lgkmcnt(0)
	v_add_f32_e32 v12, v12, v13
	ds_bpermute_b32 v13, v4, v12
	s_waitcnt lgkmcnt(0)
	v_add_f32_e32 v12, v12, v13
	ds_bpermute_b32 v13, v9, v12
	s_and_saveexec_b64 s[2:3], vcc
	s_cbranch_execz .LBB45_6
; %bb.5:
	s_waitcnt lgkmcnt(0)
	v_add_f32_e32 v12, v12, v13
	ds_write_b32 v5, v12 offset:16
.LBB45_6:
	s_or_b64 exec, exec, s[2:3]
	ds_bpermute_b32 v12, v1, v10
	s_waitcnt lgkmcnt(0)
	v_add_f32_e32 v10, v10, v12
	ds_bpermute_b32 v12, v2, v10
	s_waitcnt lgkmcnt(0)
	v_add_f32_e32 v10, v10, v12
	ds_bpermute_b32 v12, v3, v10
	s_waitcnt lgkmcnt(0)
	v_add_f32_e32 v10, v10, v12
	ds_bpermute_b32 v12, v4, v10
	s_waitcnt lgkmcnt(0)
	v_add_f32_e32 v10, v10, v12
	ds_bpermute_b32 v12, v9, v10
	s_and_saveexec_b64 s[2:3], vcc
	s_cbranch_execz .LBB45_8
; %bb.7:
	s_waitcnt lgkmcnt(0)
	v_add_f32_e32 v10, v10, v12
	ds_write_b32 v5, v10 offset:32
.LBB45_8:
	s_or_b64 exec, exec, s[2:3]
	ds_bpermute_b32 v10, v1, v6
	s_waitcnt lgkmcnt(0)
	v_add_f32_e32 v6, v6, v10
	ds_bpermute_b32 v10, v2, v6
	s_waitcnt lgkmcnt(0)
	v_add_f32_e32 v6, v6, v10
	ds_bpermute_b32 v10, v3, v6
	s_waitcnt lgkmcnt(0)
	v_add_f32_e32 v6, v6, v10
	ds_bpermute_b32 v10, v4, v6
	s_waitcnt lgkmcnt(0)
	v_add_f32_e32 v6, v6, v10
	ds_bpermute_b32 v10, v9, v6
	s_and_saveexec_b64 s[2:3], vcc
	s_cbranch_execz .LBB45_10
; %bb.9:
	s_waitcnt lgkmcnt(0)
	v_add_f32_e32 v6, v6, v10
	ds_write_b32 v5, v6 offset:48
.LBB45_10:
	s_or_b64 exec, exec, s[2:3]
	ds_bpermute_b32 v6, v1, v7
	s_waitcnt lgkmcnt(0)
	v_add_f32_e32 v6, v7, v6
	ds_bpermute_b32 v7, v2, v6
	s_waitcnt lgkmcnt(0)
	v_add_f32_e32 v6, v6, v7
	ds_bpermute_b32 v7, v3, v6
	s_waitcnt lgkmcnt(0)
	v_add_f32_e32 v6, v6, v7
	ds_bpermute_b32 v7, v4, v6
	s_waitcnt lgkmcnt(0)
	v_add_f32_e32 v6, v6, v7
	ds_bpermute_b32 v7, v9, v6
	s_and_saveexec_b64 s[2:3], vcc
	s_cbranch_execz .LBB45_12
; %bb.11:
	s_waitcnt lgkmcnt(0)
	v_add_f32_e32 v6, v6, v7
	ds_write_b32 v5, v6 offset:64
.LBB45_12:
	s_or_b64 exec, exec, s[2:3]
	ds_bpermute_b32 v6, v1, v8
	s_waitcnt lgkmcnt(0)
	v_add_f32_e32 v6, v8, v6
	ds_bpermute_b32 v7, v2, v6
	s_waitcnt lgkmcnt(0)
	v_add_f32_e32 v6, v6, v7
	ds_bpermute_b32 v7, v3, v6
	s_waitcnt lgkmcnt(0)
	v_add_f32_e32 v6, v6, v7
	ds_bpermute_b32 v7, v4, v6
	s_waitcnt lgkmcnt(0)
	v_add_f32_e32 v6, v6, v7
	ds_bpermute_b32 v7, v9, v6
	s_and_saveexec_b64 s[2:3], vcc
	s_cbranch_execz .LBB45_14
; %bb.13:
	s_waitcnt lgkmcnt(0)
	v_add_f32_e32 v6, v6, v7
	ds_write_b32 v5, v6 offset:80
.LBB45_14:
	s_or_b64 exec, exec, s[2:3]
	ds_bpermute_b32 v6, v1, v11
	s_waitcnt lgkmcnt(0)
	v_add_f32_e32 v6, v11, v6
	ds_bpermute_b32 v7, v2, v6
	s_waitcnt lgkmcnt(0)
	v_add_f32_e32 v6, v6, v7
	ds_bpermute_b32 v7, v3, v6
	s_waitcnt lgkmcnt(0)
	v_add_f32_e32 v6, v6, v7
	ds_bpermute_b32 v7, v4, v6
	s_waitcnt lgkmcnt(0)
	v_add_f32_e32 v6, v6, v7
	ds_bpermute_b32 v7, v9, v6
	s_and_saveexec_b64 s[2:3], vcc
	s_cbranch_execz .LBB45_16
; %bb.15:
	s_waitcnt lgkmcnt(0)
	v_add_f32_e32 v6, v6, v7
	ds_write_b32 v5, v6 offset:96
.LBB45_16:
	s_or_b64 exec, exec, s[2:3]
	ds_bpermute_b32 v6, v1, v14
	s_waitcnt lgkmcnt(0)
	v_add_f32_e32 v6, v14, v6
	ds_bpermute_b32 v7, v2, v6
	s_waitcnt lgkmcnt(0)
	v_add_f32_e32 v6, v6, v7
	ds_bpermute_b32 v7, v3, v6
	s_waitcnt lgkmcnt(0)
	v_add_f32_e32 v6, v6, v7
	ds_bpermute_b32 v7, v4, v6
	s_waitcnt lgkmcnt(0)
	v_add_f32_e32 v6, v6, v7
	ds_bpermute_b32 v7, v9, v6
	s_and_saveexec_b64 s[2:3], vcc
	s_cbranch_execz .LBB45_18
; %bb.17:
	s_waitcnt lgkmcnt(0)
	v_add_f32_e32 v6, v6, v7
	ds_write_b32 v5, v6 offset:112
.LBB45_18:
	s_or_b64 exec, exec, s[2:3]
	ds_bpermute_b32 v6, v1, v16
	s_waitcnt lgkmcnt(0)
	v_add_f32_e32 v6, v16, v6
	ds_bpermute_b32 v7, v2, v6
	s_waitcnt lgkmcnt(0)
	v_add_f32_e32 v6, v6, v7
	ds_bpermute_b32 v7, v3, v6
	s_waitcnt lgkmcnt(0)
	v_add_f32_e32 v6, v6, v7
	ds_bpermute_b32 v7, v4, v6
	s_waitcnt lgkmcnt(0)
	v_add_f32_e32 v6, v6, v7
	ds_bpermute_b32 v7, v9, v6
	s_and_saveexec_b64 s[2:3], vcc
	s_cbranch_execz .LBB45_20
; %bb.19:
	s_waitcnt lgkmcnt(0)
	v_add_f32_e32 v6, v6, v7
	ds_write_b32 v5, v6 offset:128
.LBB45_20:
	s_or_b64 exec, exec, s[2:3]
	ds_bpermute_b32 v6, v1, v18
	s_waitcnt lgkmcnt(0)
	v_add_f32_e32 v6, v18, v6
	ds_bpermute_b32 v7, v2, v6
	s_waitcnt lgkmcnt(0)
	v_add_f32_e32 v6, v6, v7
	ds_bpermute_b32 v7, v3, v6
	s_waitcnt lgkmcnt(0)
	v_add_f32_e32 v6, v6, v7
	ds_bpermute_b32 v7, v4, v6
	s_waitcnt lgkmcnt(0)
	v_add_f32_e32 v6, v6, v7
	ds_bpermute_b32 v7, v9, v6
	s_and_saveexec_b64 s[2:3], vcc
	s_cbranch_execz .LBB45_22
; %bb.21:
	s_waitcnt lgkmcnt(0)
	v_add_f32_e32 v6, v6, v7
	ds_write_b32 v5, v6 offset:144
.LBB45_22:
	s_or_b64 exec, exec, s[2:3]
	ds_bpermute_b32 v6, v1, v69
	s_waitcnt lgkmcnt(0)
	v_add_f32_e32 v6, v69, v6
	ds_bpermute_b32 v7, v2, v6
	s_waitcnt lgkmcnt(0)
	v_add_f32_e32 v6, v6, v7
	ds_bpermute_b32 v7, v3, v6
	s_waitcnt lgkmcnt(0)
	v_add_f32_e32 v6, v6, v7
	ds_bpermute_b32 v7, v4, v6
	s_waitcnt lgkmcnt(0)
	v_add_f32_e32 v6, v6, v7
	ds_bpermute_b32 v7, v9, v6
	s_and_saveexec_b64 s[2:3], vcc
	s_cbranch_execz .LBB45_24
; %bb.23:
	s_waitcnt lgkmcnt(0)
	v_add_f32_e32 v6, v6, v7
	ds_write_b32 v5, v6 offset:160
.LBB45_24:
	s_or_b64 exec, exec, s[2:3]
	ds_bpermute_b32 v6, v1, v70
	s_waitcnt lgkmcnt(0)
	v_add_f32_e32 v6, v70, v6
	ds_bpermute_b32 v7, v2, v6
	s_waitcnt lgkmcnt(0)
	v_add_f32_e32 v6, v6, v7
	ds_bpermute_b32 v7, v3, v6
	s_waitcnt lgkmcnt(0)
	v_add_f32_e32 v6, v6, v7
	ds_bpermute_b32 v7, v4, v6
	s_waitcnt lgkmcnt(0)
	v_add_f32_e32 v6, v6, v7
	ds_bpermute_b32 v7, v9, v6
	s_and_saveexec_b64 s[2:3], vcc
	s_cbranch_execz .LBB45_26
; %bb.25:
	s_waitcnt lgkmcnt(0)
	v_add_f32_e32 v6, v6, v7
	ds_write_b32 v5, v6 offset:176
.LBB45_26:
	s_or_b64 exec, exec, s[2:3]
	ds_bpermute_b32 v6, v1, v71
	s_waitcnt lgkmcnt(0)
	v_add_f32_e32 v6, v71, v6
	ds_bpermute_b32 v7, v2, v6
	s_waitcnt lgkmcnt(0)
	v_add_f32_e32 v6, v6, v7
	ds_bpermute_b32 v7, v3, v6
	s_waitcnt lgkmcnt(0)
	v_add_f32_e32 v6, v6, v7
	ds_bpermute_b32 v7, v4, v6
	s_waitcnt lgkmcnt(0)
	v_add_f32_e32 v6, v6, v7
	ds_bpermute_b32 v7, v9, v6
	s_and_saveexec_b64 s[2:3], vcc
	s_cbranch_execz .LBB45_28
; %bb.27:
	s_waitcnt lgkmcnt(0)
	v_add_f32_e32 v6, v6, v7
	ds_write_b32 v5, v6 offset:192
.LBB45_28:
	s_or_b64 exec, exec, s[2:3]
	ds_bpermute_b32 v1, v1, v72
	s_waitcnt lgkmcnt(0)
	v_add_f32_e32 v1, v72, v1
	ds_bpermute_b32 v2, v2, v1
	s_waitcnt lgkmcnt(0)
	v_add_f32_e32 v1, v1, v2
	ds_bpermute_b32 v2, v3, v1
	s_waitcnt lgkmcnt(0)
	v_add_f32_e32 v1, v1, v2
	ds_bpermute_b32 v2, v4, v1
	s_waitcnt lgkmcnt(0)
	v_add_f32_e32 v1, v1, v2
	ds_bpermute_b32 v2, v9, v1
	s_and_saveexec_b64 s[2:3], vcc
	s_cbranch_execz .LBB45_30
; %bb.29:
	s_waitcnt lgkmcnt(0)
	v_add_f32_e32 v1, v1, v2
	ds_write_b32 v5, v1 offset:208
.LBB45_30:
	s_or_b64 exec, exec, s[2:3]
	v_cmp_eq_u32_e32 vcc, 0, v0
	s_waitcnt lgkmcnt(0)
	s_barrier
	s_and_saveexec_b64 s[2:3], vcc
	s_cbranch_execz .LBB45_32
; %bb.31:
	v_mov_b32_e32 v16, 0
	ds_read_b128 v[0:3], v16
	s_ashr_i32 s7, s6, 31
	ds_read_b128 v[4:7], v16 offset:16
	ds_read_b128 v[8:11], v16 offset:32
	;; [unrolled: 1-line block ×3, first 2 shown]
	s_lshl_b64 s[2:3], s[6:7], 2
	s_add_u32 s0, s0, s2
	s_waitcnt lgkmcnt(3)
	v_add_f32_e32 v0, 0, v0
	v_add_f32_e32 v0, v0, v1
	;; [unrolled: 1-line block ×4, first 2 shown]
	s_addc_u32 s1, s1, s3
	global_store_dword v16, v0, s[0:1]
	s_waitcnt lgkmcnt(2)
	v_add_f32_e32 v0, 0, v4
	v_add_f32_e32 v0, v0, v5
	;; [unrolled: 1-line block ×4, first 2 shown]
	global_store_dword v16, v0, s[0:1] offset:1024
	s_waitcnt lgkmcnt(1)
	v_add_f32_e32 v0, 0, v8
	v_add_f32_e32 v0, v0, v9
	;; [unrolled: 1-line block ×4, first 2 shown]
	global_store_dword v16, v0, s[0:1] offset:2048
	s_waitcnt lgkmcnt(0)
	v_add_f32_e32 v0, 0, v12
	v_add_f32_e32 v4, v0, v13
	ds_read_b128 v[0:3], v16 offset:64
	v_add_f32_e32 v4, v4, v14
	v_add_f32_e32 v4, v4, v15
	global_store_dword v16, v4, s[0:1] offset:3072
	ds_read_b128 v[4:7], v16 offset:80
	s_waitcnt lgkmcnt(1)
	v_add_f32_e32 v0, 0, v0
	v_add_f32_e32 v0, v0, v1
	;; [unrolled: 1-line block ×4, first 2 shown]
	v_mov_b32_e32 v8, 0x1000
	global_store_dword v8, v0, s[0:1]
	s_waitcnt lgkmcnt(0)
	v_add_f32_e32 v0, 0, v4
	v_add_f32_e32 v4, v0, v5
	ds_read_b128 v[0:3], v16 offset:96
	v_add_f32_e32 v4, v4, v6
	v_add_f32_e32 v4, v4, v7
	global_store_dword v8, v4, s[0:1] offset:1024
	ds_read_b128 v[4:7], v16 offset:112
	s_waitcnt lgkmcnt(1)
	v_add_f32_e32 v0, 0, v0
	v_add_f32_e32 v0, v0, v1
	;; [unrolled: 1-line block ×4, first 2 shown]
	global_store_dword v8, v0, s[0:1] offset:2048
	s_waitcnt lgkmcnt(0)
	v_add_f32_e32 v0, 0, v4
	v_add_f32_e32 v4, v0, v5
	ds_read_b128 v[0:3], v16 offset:128
	v_add_f32_e32 v4, v4, v6
	v_add_f32_e32 v4, v4, v7
	global_store_dword v8, v4, s[0:1] offset:3072
	ds_read_b128 v[4:7], v16 offset:144
	s_waitcnt lgkmcnt(1)
	v_add_f32_e32 v0, 0, v0
	v_add_f32_e32 v0, v0, v1
	;; [unrolled: 1-line block ×4, first 2 shown]
	v_mov_b32_e32 v12, 0x2000
	global_store_dword v12, v0, s[0:1]
	ds_read_b128 v[0:3], v16 offset:160
	ds_read_b128 v[8:11], v16 offset:176
	s_waitcnt lgkmcnt(2)
	v_add_f32_e32 v4, 0, v4
	v_add_f32_e32 v4, v4, v5
	;; [unrolled: 1-line block ×3, first 2 shown]
	s_waitcnt lgkmcnt(1)
	v_add_f32_e32 v0, 0, v0
	v_add_f32_e32 v0, v0, v1
	;; [unrolled: 1-line block ×5, first 2 shown]
	global_store_dword v12, v0, s[0:1] offset:2048
	s_waitcnt lgkmcnt(0)
	v_add_f32_e32 v0, 0, v8
	global_store_dword v12, v4, s[0:1] offset:1024
	v_add_f32_e32 v4, v0, v9
	ds_read_b128 v[0:3], v16 offset:192
	v_add_f32_e32 v4, v4, v10
	v_add_f32_e32 v4, v4, v11
	global_store_dword v12, v4, s[0:1] offset:3072
	ds_read_b128 v[4:7], v16 offset:208
	s_waitcnt lgkmcnt(1)
	v_add_f32_e32 v0, 0, v0
	v_add_f32_e32 v0, v0, v1
	;; [unrolled: 1-line block ×4, first 2 shown]
	v_mov_b32_e32 v1, 0x3000
	global_store_dword v1, v0, s[0:1]
	s_waitcnt lgkmcnt(0)
	v_add_f32_e32 v0, 0, v4
	v_add_f32_e32 v0, v0, v5
	;; [unrolled: 1-line block ×4, first 2 shown]
	global_store_dword v1, v0, s[0:1] offset:1024
.LBB45_32:
	s_endpgm
	.section	.rodata,"a",@progbits
	.p2align	6, 0x0
	.amdhsa_kernel _Z23fp32_router_gemm_kernelI14__hip_bfloat16Li128ELi14ELi256ELi3072EEvPfPKT_PKf
		.amdhsa_group_segment_fixed_size 224
		.amdhsa_private_segment_fixed_size 0
		.amdhsa_kernarg_size 24
		.amdhsa_user_sgpr_count 6
		.amdhsa_user_sgpr_private_segment_buffer 1
		.amdhsa_user_sgpr_dispatch_ptr 0
		.amdhsa_user_sgpr_queue_ptr 0
		.amdhsa_user_sgpr_kernarg_segment_ptr 1
		.amdhsa_user_sgpr_dispatch_id 0
		.amdhsa_user_sgpr_flat_scratch_init 0
		.amdhsa_user_sgpr_kernarg_preload_length 0
		.amdhsa_user_sgpr_kernarg_preload_offset 0
		.amdhsa_user_sgpr_private_segment_size 0
		.amdhsa_uses_dynamic_stack 0
		.amdhsa_system_sgpr_private_segment_wavefront_offset 0
		.amdhsa_system_sgpr_workgroup_id_x 1
		.amdhsa_system_sgpr_workgroup_id_y 0
		.amdhsa_system_sgpr_workgroup_id_z 0
		.amdhsa_system_sgpr_workgroup_info 0
		.amdhsa_system_vgpr_workitem_id 0
		.amdhsa_next_free_vgpr 85
		.amdhsa_next_free_sgpr 22
		.amdhsa_accum_offset 88
		.amdhsa_reserve_vcc 1
		.amdhsa_reserve_flat_scratch 0
		.amdhsa_float_round_mode_32 0
		.amdhsa_float_round_mode_16_64 0
		.amdhsa_float_denorm_mode_32 3
		.amdhsa_float_denorm_mode_16_64 3
		.amdhsa_dx10_clamp 1
		.amdhsa_ieee_mode 1
		.amdhsa_fp16_overflow 0
		.amdhsa_tg_split 0
		.amdhsa_exception_fp_ieee_invalid_op 0
		.amdhsa_exception_fp_denorm_src 0
		.amdhsa_exception_fp_ieee_div_zero 0
		.amdhsa_exception_fp_ieee_overflow 0
		.amdhsa_exception_fp_ieee_underflow 0
		.amdhsa_exception_fp_ieee_inexact 0
		.amdhsa_exception_int_div_zero 0
	.end_amdhsa_kernel
	.section	.text._Z23fp32_router_gemm_kernelI14__hip_bfloat16Li128ELi14ELi256ELi3072EEvPfPKT_PKf,"axG",@progbits,_Z23fp32_router_gemm_kernelI14__hip_bfloat16Li128ELi14ELi256ELi3072EEvPfPKT_PKf,comdat
.Lfunc_end45:
	.size	_Z23fp32_router_gemm_kernelI14__hip_bfloat16Li128ELi14ELi256ELi3072EEvPfPKT_PKf, .Lfunc_end45-_Z23fp32_router_gemm_kernelI14__hip_bfloat16Li128ELi14ELi256ELi3072EEvPfPKT_PKf
                                        ; -- End function
	.section	.AMDGPU.csdata,"",@progbits
; Kernel info:
; codeLenInByte = 4216
; NumSgprs: 26
; NumVgprs: 85
; NumAgprs: 0
; TotalNumVgprs: 85
; ScratchSize: 0
; MemoryBound: 0
; FloatMode: 240
; IeeeMode: 1
; LDSByteSize: 224 bytes/workgroup (compile time only)
; SGPRBlocks: 3
; VGPRBlocks: 10
; NumSGPRsForWavesPerEU: 26
; NumVGPRsForWavesPerEU: 85
; AccumOffset: 88
; Occupancy: 5
; WaveLimiterHint : 1
; COMPUTE_PGM_RSRC2:SCRATCH_EN: 0
; COMPUTE_PGM_RSRC2:USER_SGPR: 6
; COMPUTE_PGM_RSRC2:TRAP_HANDLER: 0
; COMPUTE_PGM_RSRC2:TGID_X_EN: 1
; COMPUTE_PGM_RSRC2:TGID_Y_EN: 0
; COMPUTE_PGM_RSRC2:TGID_Z_EN: 0
; COMPUTE_PGM_RSRC2:TIDIG_COMP_CNT: 0
; COMPUTE_PGM_RSRC3_GFX90A:ACCUM_OFFSET: 21
; COMPUTE_PGM_RSRC3_GFX90A:TG_SPLIT: 0
	.section	.text._Z23fp32_router_gemm_kernelI14__hip_bfloat16Li128ELi15ELi256ELi3072EEvPfPKT_PKf,"axG",@progbits,_Z23fp32_router_gemm_kernelI14__hip_bfloat16Li128ELi15ELi256ELi3072EEvPfPKT_PKf,comdat
	.protected	_Z23fp32_router_gemm_kernelI14__hip_bfloat16Li128ELi15ELi256ELi3072EEvPfPKT_PKf ; -- Begin function _Z23fp32_router_gemm_kernelI14__hip_bfloat16Li128ELi15ELi256ELi3072EEvPfPKT_PKf
	.globl	_Z23fp32_router_gemm_kernelI14__hip_bfloat16Li128ELi15ELi256ELi3072EEvPfPKT_PKf
	.p2align	8
	.type	_Z23fp32_router_gemm_kernelI14__hip_bfloat16Li128ELi15ELi256ELi3072EEvPfPKT_PKf,@function
_Z23fp32_router_gemm_kernelI14__hip_bfloat16Li128ELi15ELi256ELi3072EEvPfPKT_PKf: ; @_Z23fp32_router_gemm_kernelI14__hip_bfloat16Li128ELi15ELi256ELi3072EEvPfPKT_PKf
; %bb.0:
	s_load_dwordx4 s[0:3], s[4:5], 0x0
	s_load_dwordx2 s[8:9], s[4:5], 0x10
	s_mul_i32 s4, s6, 0xc00
	s_ashr_i32 s5, s4, 31
	s_lshl_b64 s[4:5], s[4:5], 2
	v_lshlrev_b32_e32 v70, 3, v0
	s_waitcnt lgkmcnt(0)
	s_add_u32 s4, s8, s4
	v_or_b32_e32 v1, 0x400, v70
	v_or_b32_e32 v72, 0x800, v70
	s_addc_u32 s5, s9, s5
	s_mov_b64 s[8:9], 0
	v_mov_b32_e32 v12, 0
	v_mov_b32_e32 v71, s3
	s_movk_i32 s7, 0x1000
	s_movk_i32 s10, 0x3000
	;; [unrolled: 1-line block ×5, first 2 shown]
	s_mov_b32 s14, 0x9000
	s_mov_b32 s15, 0xa000
	;; [unrolled: 1-line block ×9, first 2 shown]
	v_mov_b32_e32 v15, 0
	v_mov_b32_e32 v10, 0
	;; [unrolled: 1-line block ×14, first 2 shown]
.LBB46_1:                               ; =>This Inner Loop Header: Depth=1
	s_cmp_eq_u32 s8, 1
	s_cselect_b64 vcc, -1, 0
	s_cmp_eq_u32 s8, 2
	v_cndmask_b32_e32 v2, v70, v1, vcc
	s_cselect_b64 vcc, -1, 0
	v_cndmask_b32_e32 v2, v2, v72, vcc
	v_lshlrev_b32_e32 v9, 2, v2
	v_lshlrev_b32_e32 v13, 1, v2
	global_load_dwordx4 v[2:5], v9, s[4:5] offset:16
	global_load_dwordx4 v[66:69], v9, s[4:5]
	global_load_dwordx4 v[62:65], v13, s[2:3]
	v_add_co_u32_e32 v77, vcc, s2, v13
	v_addc_co_u32_e32 v78, vcc, 0, v71, vcc
	s_add_u32 s8, s8, 1
	s_addc_u32 s9, s9, 0
	s_cmp_eq_u32 s8, 3
	s_waitcnt vmcnt(0)
	v_and_b32_e32 v21, 0xffff0000, v62
	v_lshlrev_b32_e32 v20, 16, v62
	v_pk_mul_f32 v[20:21], v[66:67], v[20:21]
	v_add_f32_e32 v9, v12, v20
	v_add_co_u32_e32 v12, vcc, s7, v77
	v_addc_co_u32_e32 v13, vcc, 0, v78, vcc
	global_load_dwordx4 v[50:53], v[12:13], off offset:2048
	v_add_f32_e32 v62, v9, v21
	s_waitcnt vmcnt(0)
	v_and_b32_e32 v13, 0xffff0000, v50
	v_lshlrev_b32_e32 v12, 16, v50
	v_pk_mul_f32 v[12:13], v[66:67], v[12:13]
	v_add_f32_e32 v9, v15, v12
	v_add_co_u32_e32 v12, vcc, s10, v77
	v_add_f32_e32 v79, v9, v13
	v_addc_co_u32_e32 v13, vcc, 0, v78, vcc
	global_load_dwordx4 v[54:57], v[12:13], off
	s_waitcnt vmcnt(0)
	v_and_b32_e32 v13, 0xffff0000, v54
	v_lshlrev_b32_e32 v12, 16, v54
	v_pk_mul_f32 v[12:13], v[66:67], v[12:13]
	v_add_f32_e32 v9, v10, v12
	v_add_co_u32_e32 v12, vcc, s11, v77
	v_add_f32_e32 v54, v9, v13
	v_addc_co_u32_e32 v13, vcc, 0, v78, vcc
	global_load_dwordx4 v[58:61], v[12:13], off offset:2048
	s_waitcnt vmcnt(0)
	v_and_b32_e32 v13, 0xffff0000, v58
	v_lshlrev_b32_e32 v12, 16, v58
	v_pk_mul_f32 v[12:13], v[66:67], v[12:13]
	v_add_f32_e32 v6, v6, v12
	v_add_co_u32_e32 v12, vcc, s12, v77
	v_add_f32_e32 v58, v6, v13
	v_addc_co_u32_e32 v13, vcc, 0, v78, vcc
	global_load_dwordx4 v[46:49], v[12:13], off
	s_waitcnt vmcnt(0)
	v_and_b32_e32 v13, 0xffff0000, v46
	v_lshlrev_b32_e32 v12, 16, v46
	v_pk_mul_f32 v[12:13], v[66:67], v[12:13]
	v_add_f32_e32 v6, v7, v12
	v_add_f32_e32 v80, v6, v13
	v_add_co_u32_e32 v6, vcc, s13, v77
	v_addc_co_u32_e32 v7, vcc, 0, v78, vcc
	global_load_dwordx4 v[42:45], v[6:7], off offset:2048
	s_waitcnt vmcnt(0)
	v_and_b32_e32 v7, 0xffff0000, v42
	v_lshlrev_b32_e32 v6, 16, v42
	v_pk_mul_f32 v[6:7], v[66:67], v[6:7]
	v_add_f32_e32 v6, v8, v6
	v_add_f32_e32 v81, v6, v7
	v_add_co_u32_e32 v6, vcc, s14, v77
	v_addc_co_u32_e32 v7, vcc, 0, v78, vcc
	global_load_dwordx4 v[38:41], v[6:7], off
	s_waitcnt vmcnt(0)
	v_and_b32_e32 v7, 0xffff0000, v38
	v_lshlrev_b32_e32 v6, 16, v38
	v_pk_mul_f32 v[6:7], v[66:67], v[6:7]
	v_add_f32_e32 v6, v11, v6
	v_add_f32_e32 v82, v6, v7
	v_add_co_u32_e32 v6, vcc, s15, v77
	v_addc_co_u32_e32 v7, vcc, 0, v78, vcc
	global_load_dwordx4 v[34:37], v[6:7], off offset:2048
	s_waitcnt vmcnt(0)
	v_and_b32_e32 v7, 0xffff0000, v34
	v_lshlrev_b32_e32 v6, 16, v34
	v_pk_mul_f32 v[6:7], v[66:67], v[6:7]
	v_add_f32_e32 v6, v14, v6
	v_add_f32_e32 v83, v6, v7
	v_add_co_u32_e32 v6, vcc, s16, v77
	;; [unrolled: 18-line block ×5, first 2 shown]
	v_addc_co_u32_e32 v7, vcc, 0, v78, vcc
	global_load_dwordx4 v[6:9], v[6:7], off
	s_waitcnt vmcnt(0)
	v_and_b32_e32 v75, 0xffff0000, v6
	v_lshlrev_b32_e32 v74, 16, v6
	v_pk_mul_f32 v[66:67], v[66:67], v[74:75]
	v_add_f32_e32 v6, v76, v66
	v_add_f32_e32 v74, v6, v67
	v_and_b32_e32 v67, 0xffff0000, v63
	v_lshlrev_b32_e32 v66, 16, v63
	v_pk_mul_f32 v[66:67], v[68:69], v[66:67]
	v_add_f32_e32 v6, v62, v66
	v_and_b32_e32 v63, 0xffff0000, v51
	v_lshlrev_b32_e32 v62, 16, v51
	v_pk_mul_f32 v[50:51], v[68:69], v[62:63]
	v_add_f32_e32 v66, v6, v67
	v_add_f32_e32 v6, v79, v50
	v_add_f32_e32 v62, v6, v51
	v_and_b32_e32 v51, 0xffff0000, v55
	v_lshlrev_b32_e32 v50, 16, v55
	v_pk_mul_f32 v[50:51], v[68:69], v[50:51]
	v_add_f32_e32 v6, v54, v50
	v_add_f32_e32 v54, v6, v51
	v_and_b32_e32 v51, 0xffff0000, v59
	v_lshlrev_b32_e32 v50, 16, v59
	v_pk_mul_f32 v[50:51], v[68:69], v[50:51]
	v_add_f32_e32 v6, v58, v50
	v_add_f32_e32 v55, v6, v51
	;; [unrolled: 5-line block ×27, first 2 shown]
	v_and_b32_e32 v7, 0xffff0000, v8
	v_lshlrev_b32_e32 v6, 16, v8
	v_pk_mul_f32 v[2:3], v[2:3], v[6:7]
	v_and_b32_e32 v7, 0xffff0000, v65
	v_lshlrev_b32_e32 v6, 16, v65
	v_add_f32_e32 v2, v10, v2
	v_pk_mul_f32 v[6:7], v[4:5], v[6:7]
	v_add_f32_e32 v2, v2, v3
	v_add_f32_e32 v3, v35, v6
	v_add_f32_e32 v12, v3, v7
	v_and_b32_e32 v7, 0xffff0000, v53
	v_lshlrev_b32_e32 v6, 16, v53
	v_pk_mul_f32 v[6:7], v[4:5], v[6:7]
	v_add_f32_e32 v3, v39, v6
	v_add_f32_e32 v15, v3, v7
	v_and_b32_e32 v7, 0xffff0000, v57
	v_lshlrev_b32_e32 v6, 16, v57
	v_pk_mul_f32 v[6:7], v[4:5], v[6:7]
	v_add_f32_e32 v3, v43, v6
	v_add_f32_e32 v10, v3, v7
	v_and_b32_e32 v7, 0xffff0000, v61
	v_lshlrev_b32_e32 v6, 16, v61
	v_pk_mul_f32 v[6:7], v[4:5], v[6:7]
	v_and_b32_e32 v31, 0xffff0000, v49
	v_lshlrev_b32_e32 v30, 16, v49
	v_add_f32_e32 v3, v47, v6
	v_pk_mul_f32 v[30:31], v[4:5], v[30:31]
	v_add_f32_e32 v6, v3, v7
	v_add_f32_e32 v3, v48, v30
	;; [unrolled: 1-line block ×3, first 2 shown]
	v_and_b32_e32 v31, 0xffff0000, v45
	v_lshlrev_b32_e32 v30, 16, v45
	v_pk_mul_f32 v[30:31], v[4:5], v[30:31]
	v_add_f32_e32 v3, v44, v30
	v_add_f32_e32 v8, v3, v31
	v_and_b32_e32 v31, 0xffff0000, v41
	v_lshlrev_b32_e32 v30, 16, v41
	v_pk_mul_f32 v[30:31], v[4:5], v[30:31]
	v_add_f32_e32 v3, v11, v30
	v_add_f32_e32 v11, v3, v31
	;; [unrolled: 5-line block ×3, first 2 shown]
	v_and_b32_e32 v31, 0xffff0000, v33
	v_lshlrev_b32_e32 v30, 16, v33
	v_pk_mul_f32 v[30:31], v[4:5], v[30:31]
	v_add_f32_e32 v3, v26, v30
	v_and_b32_e32 v27, 0xffff0000, v29
	v_lshlrev_b32_e32 v26, 16, v29
	v_pk_mul_f32 v[26:27], v[4:5], v[26:27]
	v_add_f32_e32 v16, v3, v31
	v_add_f32_e32 v3, v18, v26
	;; [unrolled: 1-line block ×3, first 2 shown]
	v_and_b32_e32 v27, 0xffff0000, v25
	v_lshlrev_b32_e32 v26, 16, v25
	v_pk_mul_f32 v[24:25], v[4:5], v[26:27]
	v_add_f32_e32 v3, v19, v24
	v_add_f32_e32 v19, v3, v25
	v_and_b32_e32 v25, 0xffff0000, v21
	v_lshlrev_b32_e32 v24, 16, v21
	v_pk_mul_f32 v[24:25], v[4:5], v[24:25]
	v_add_f32_e32 v3, v23, v24
	v_add_f32_e32 v73, v3, v25
	v_and_b32_e32 v25, 0xffff0000, v17
	v_lshlrev_b32_e32 v24, 16, v17
	v_pk_mul_f32 v[24:25], v[4:5], v[24:25]
	v_add_f32_e32 v3, v22, v24
	v_and_b32_e32 v23, 0xffff0000, v13
	v_lshlrev_b32_e32 v22, 16, v13
	v_pk_mul_f32 v[22:23], v[4:5], v[22:23]
	v_add_f32_e32 v74, v3, v25
	v_add_f32_e32 v3, v20, v22
	v_and_b32_e32 v21, 0xffff0000, v9
	v_lshlrev_b32_e32 v20, 16, v9
	v_pk_mul_f32 v[4:5], v[4:5], v[20:21]
	v_add_f32_e32 v2, v2, v4
	v_add_f32_e32 v75, v3, v23
	;; [unrolled: 1-line block ×3, first 2 shown]
	s_cbranch_scc0 .LBB46_1
; %bb.2:
	v_mbcnt_lo_u32_b32 v1, -1, 0
	v_mbcnt_hi_u32_b32 v5, -1, v1
	v_and_b32_e32 v2, 64, v5
	v_xor_b32_e32 v1, 16, v5
	v_add_u32_e32 v9, 64, v2
	v_cmp_lt_i32_e32 vcc, v1, v9
	v_cndmask_b32_e32 v1, v5, v1, vcc
	v_lshlrev_b32_e32 v1, 2, v1
	ds_bpermute_b32 v3, v1, v12
	v_xor_b32_e32 v2, 8, v5
	v_cmp_lt_i32_e32 vcc, v2, v9
	v_cndmask_b32_e32 v2, v5, v2, vcc
	v_lshlrev_b32_e32 v2, 2, v2
	s_waitcnt lgkmcnt(0)
	v_add_f32_e32 v4, v12, v3
	ds_bpermute_b32 v12, v2, v4
	v_xor_b32_e32 v3, 4, v5
	v_cmp_lt_i32_e32 vcc, v3, v9
	v_cndmask_b32_e32 v3, v5, v3, vcc
	v_lshlrev_b32_e32 v3, 2, v3
	s_waitcnt lgkmcnt(0)
	v_add_f32_e32 v12, v4, v12
	;; [unrolled: 7-line block ×4, first 2 shown]
	ds_bpermute_b32 v13, v9, v12
	v_lshrrev_b32_e32 v5, 5, v0
	v_and_b32_e32 v17, 31, v0
	v_cmp_eq_u32_e32 vcc, 0, v17
	v_lshlrev_b32_e32 v5, 2, v5
	s_and_saveexec_b64 s[2:3], vcc
	s_cbranch_execz .LBB46_4
; %bb.3:
	s_waitcnt lgkmcnt(0)
	v_add_f32_e32 v12, v12, v13
	ds_write_b32 v5, v12
.LBB46_4:
	s_or_b64 exec, exec, s[2:3]
	ds_bpermute_b32 v12, v1, v15
	s_waitcnt lgkmcnt(0)
	v_add_f32_e32 v12, v15, v12
	ds_bpermute_b32 v13, v2, v12
	s_waitcnt lgkmcnt(0)
	v_add_f32_e32 v12, v12, v13
	ds_bpermute_b32 v13, v3, v12
	s_waitcnt lgkmcnt(0)
	v_add_f32_e32 v12, v12, v13
	ds_bpermute_b32 v13, v4, v12
	s_waitcnt lgkmcnt(0)
	v_add_f32_e32 v12, v12, v13
	ds_bpermute_b32 v13, v9, v12
	s_and_saveexec_b64 s[2:3], vcc
	s_cbranch_execz .LBB46_6
; %bb.5:
	s_waitcnt lgkmcnt(0)
	v_add_f32_e32 v12, v12, v13
	ds_write_b32 v5, v12 offset:16
.LBB46_6:
	s_or_b64 exec, exec, s[2:3]
	ds_bpermute_b32 v12, v1, v10
	s_waitcnt lgkmcnt(0)
	v_add_f32_e32 v10, v10, v12
	ds_bpermute_b32 v12, v2, v10
	s_waitcnt lgkmcnt(0)
	v_add_f32_e32 v10, v10, v12
	ds_bpermute_b32 v12, v3, v10
	s_waitcnt lgkmcnt(0)
	v_add_f32_e32 v10, v10, v12
	ds_bpermute_b32 v12, v4, v10
	s_waitcnt lgkmcnt(0)
	v_add_f32_e32 v10, v10, v12
	ds_bpermute_b32 v12, v9, v10
	s_and_saveexec_b64 s[2:3], vcc
	s_cbranch_execz .LBB46_8
; %bb.7:
	s_waitcnt lgkmcnt(0)
	v_add_f32_e32 v10, v10, v12
	ds_write_b32 v5, v10 offset:32
.LBB46_8:
	;; [unrolled: 21-line block ×14, first 2 shown]
	s_or_b64 exec, exec, s[2:3]
	v_cmp_eq_u32_e32 vcc, 0, v0
	s_waitcnt lgkmcnt(0)
	s_barrier
	s_and_saveexec_b64 s[2:3], vcc
	s_cbranch_execz .LBB46_34
; %bb.33:
	v_mov_b32_e32 v16, 0
	ds_read_b128 v[0:3], v16
	s_ashr_i32 s7, s6, 31
	ds_read_b128 v[4:7], v16 offset:16
	ds_read_b128 v[8:11], v16 offset:32
	;; [unrolled: 1-line block ×3, first 2 shown]
	s_lshl_b64 s[2:3], s[6:7], 2
	s_add_u32 s0, s0, s2
	s_waitcnt lgkmcnt(3)
	v_add_f32_e32 v0, 0, v0
	v_add_f32_e32 v0, v0, v1
	v_add_f32_e32 v0, v0, v2
	v_add_f32_e32 v0, v0, v3
	s_addc_u32 s1, s1, s3
	global_store_dword v16, v0, s[0:1]
	s_waitcnt lgkmcnt(2)
	v_add_f32_e32 v0, 0, v4
	v_add_f32_e32 v0, v0, v5
	v_add_f32_e32 v0, v0, v6
	v_add_f32_e32 v0, v0, v7
	global_store_dword v16, v0, s[0:1] offset:1024
	s_waitcnt lgkmcnt(1)
	v_add_f32_e32 v0, 0, v8
	v_add_f32_e32 v0, v0, v9
	;; [unrolled: 1-line block ×4, first 2 shown]
	global_store_dword v16, v0, s[0:1] offset:2048
	s_waitcnt lgkmcnt(0)
	v_add_f32_e32 v0, 0, v12
	v_add_f32_e32 v4, v0, v13
	ds_read_b128 v[0:3], v16 offset:64
	v_add_f32_e32 v4, v4, v14
	v_add_f32_e32 v4, v4, v15
	global_store_dword v16, v4, s[0:1] offset:3072
	ds_read_b128 v[4:7], v16 offset:80
	s_waitcnt lgkmcnt(1)
	v_add_f32_e32 v0, 0, v0
	v_add_f32_e32 v0, v0, v1
	;; [unrolled: 1-line block ×4, first 2 shown]
	v_mov_b32_e32 v8, 0x1000
	global_store_dword v8, v0, s[0:1]
	s_waitcnt lgkmcnt(0)
	v_add_f32_e32 v0, 0, v4
	v_add_f32_e32 v4, v0, v5
	ds_read_b128 v[0:3], v16 offset:96
	v_add_f32_e32 v4, v4, v6
	v_add_f32_e32 v4, v4, v7
	global_store_dword v8, v4, s[0:1] offset:1024
	ds_read_b128 v[4:7], v16 offset:112
	s_waitcnt lgkmcnt(1)
	v_add_f32_e32 v0, 0, v0
	v_add_f32_e32 v0, v0, v1
	;; [unrolled: 1-line block ×4, first 2 shown]
	global_store_dword v8, v0, s[0:1] offset:2048
	s_waitcnt lgkmcnt(0)
	v_add_f32_e32 v0, 0, v4
	v_add_f32_e32 v4, v0, v5
	ds_read_b128 v[0:3], v16 offset:128
	v_add_f32_e32 v4, v4, v6
	v_add_f32_e32 v4, v4, v7
	global_store_dword v8, v4, s[0:1] offset:3072
	ds_read_b128 v[4:7], v16 offset:144
	s_waitcnt lgkmcnt(1)
	v_add_f32_e32 v0, 0, v0
	v_add_f32_e32 v0, v0, v1
	;; [unrolled: 1-line block ×4, first 2 shown]
	v_mov_b32_e32 v12, 0x2000
	global_store_dword v12, v0, s[0:1]
	ds_read_b128 v[0:3], v16 offset:160
	ds_read_b128 v[8:11], v16 offset:176
	s_waitcnt lgkmcnt(2)
	v_add_f32_e32 v4, 0, v4
	v_add_f32_e32 v4, v4, v5
	v_add_f32_e32 v4, v4, v6
	s_waitcnt lgkmcnt(1)
	v_add_f32_e32 v0, 0, v0
	v_add_f32_e32 v0, v0, v1
	v_add_f32_e32 v0, v0, v2
	v_add_f32_e32 v0, v0, v3
	v_add_f32_e32 v4, v4, v7
	global_store_dword v12, v0, s[0:1] offset:2048
	s_waitcnt lgkmcnt(0)
	v_add_f32_e32 v0, 0, v8
	global_store_dword v12, v4, s[0:1] offset:1024
	v_add_f32_e32 v4, v0, v9
	ds_read_b128 v[0:3], v16 offset:192
	v_add_f32_e32 v4, v4, v10
	v_add_f32_e32 v4, v4, v11
	global_store_dword v12, v4, s[0:1] offset:3072
	ds_read_b128 v[4:7], v16 offset:208
	s_waitcnt lgkmcnt(1)
	v_add_f32_e32 v0, 0, v0
	v_add_f32_e32 v0, v0, v1
	;; [unrolled: 1-line block ×4, first 2 shown]
	v_mov_b32_e32 v8, 0x3000
	global_store_dword v8, v0, s[0:1]
	ds_read_b128 v[0:3], v16 offset:224
	s_waitcnt lgkmcnt(1)
	v_add_f32_e32 v4, 0, v4
	v_add_f32_e32 v4, v4, v5
	v_add_f32_e32 v4, v4, v6
	v_add_f32_e32 v4, v4, v7
	s_waitcnt lgkmcnt(0)
	v_add_f32_e32 v0, 0, v0
	v_add_f32_e32 v0, v0, v1
	;; [unrolled: 1-line block ×4, first 2 shown]
	global_store_dword v8, v4, s[0:1] offset:1024
	global_store_dword v8, v0, s[0:1] offset:2048
.LBB46_34:
	s_endpgm
	.section	.rodata,"a",@progbits
	.p2align	6, 0x0
	.amdhsa_kernel _Z23fp32_router_gemm_kernelI14__hip_bfloat16Li128ELi15ELi256ELi3072EEvPfPKT_PKf
		.amdhsa_group_segment_fixed_size 240
		.amdhsa_private_segment_fixed_size 0
		.amdhsa_kernarg_size 24
		.amdhsa_user_sgpr_count 6
		.amdhsa_user_sgpr_private_segment_buffer 1
		.amdhsa_user_sgpr_dispatch_ptr 0
		.amdhsa_user_sgpr_queue_ptr 0
		.amdhsa_user_sgpr_kernarg_segment_ptr 1
		.amdhsa_user_sgpr_dispatch_id 0
		.amdhsa_user_sgpr_flat_scratch_init 0
		.amdhsa_user_sgpr_kernarg_preload_length 0
		.amdhsa_user_sgpr_kernarg_preload_offset 0
		.amdhsa_user_sgpr_private_segment_size 0
		.amdhsa_uses_dynamic_stack 0
		.amdhsa_system_sgpr_private_segment_wavefront_offset 0
		.amdhsa_system_sgpr_workgroup_id_x 1
		.amdhsa_system_sgpr_workgroup_id_y 0
		.amdhsa_system_sgpr_workgroup_id_z 0
		.amdhsa_system_sgpr_workgroup_info 0
		.amdhsa_system_vgpr_workitem_id 0
		.amdhsa_next_free_vgpr 89
		.amdhsa_next_free_sgpr 23
		.amdhsa_accum_offset 92
		.amdhsa_reserve_vcc 1
		.amdhsa_reserve_flat_scratch 0
		.amdhsa_float_round_mode_32 0
		.amdhsa_float_round_mode_16_64 0
		.amdhsa_float_denorm_mode_32 3
		.amdhsa_float_denorm_mode_16_64 3
		.amdhsa_dx10_clamp 1
		.amdhsa_ieee_mode 1
		.amdhsa_fp16_overflow 0
		.amdhsa_tg_split 0
		.amdhsa_exception_fp_ieee_invalid_op 0
		.amdhsa_exception_fp_denorm_src 0
		.amdhsa_exception_fp_ieee_div_zero 0
		.amdhsa_exception_fp_ieee_overflow 0
		.amdhsa_exception_fp_ieee_underflow 0
		.amdhsa_exception_fp_ieee_inexact 0
		.amdhsa_exception_int_div_zero 0
	.end_amdhsa_kernel
	.section	.text._Z23fp32_router_gemm_kernelI14__hip_bfloat16Li128ELi15ELi256ELi3072EEvPfPKT_PKf,"axG",@progbits,_Z23fp32_router_gemm_kernelI14__hip_bfloat16Li128ELi15ELi256ELi3072EEvPfPKT_PKf,comdat
.Lfunc_end46:
	.size	_Z23fp32_router_gemm_kernelI14__hip_bfloat16Li128ELi15ELi256ELi3072EEvPfPKT_PKf, .Lfunc_end46-_Z23fp32_router_gemm_kernelI14__hip_bfloat16Li128ELi15ELi256ELi3072EEvPfPKT_PKf
                                        ; -- End function
	.section	.AMDGPU.csdata,"",@progbits
; Kernel info:
; codeLenInByte = 4496
; NumSgprs: 27
; NumVgprs: 89
; NumAgprs: 0
; TotalNumVgprs: 89
; ScratchSize: 0
; MemoryBound: 0
; FloatMode: 240
; IeeeMode: 1
; LDSByteSize: 240 bytes/workgroup (compile time only)
; SGPRBlocks: 3
; VGPRBlocks: 11
; NumSGPRsForWavesPerEU: 27
; NumVGPRsForWavesPerEU: 89
; AccumOffset: 92
; Occupancy: 5
; WaveLimiterHint : 1
; COMPUTE_PGM_RSRC2:SCRATCH_EN: 0
; COMPUTE_PGM_RSRC2:USER_SGPR: 6
; COMPUTE_PGM_RSRC2:TRAP_HANDLER: 0
; COMPUTE_PGM_RSRC2:TGID_X_EN: 1
; COMPUTE_PGM_RSRC2:TGID_Y_EN: 0
; COMPUTE_PGM_RSRC2:TGID_Z_EN: 0
; COMPUTE_PGM_RSRC2:TIDIG_COMP_CNT: 0
; COMPUTE_PGM_RSRC3_GFX90A:ACCUM_OFFSET: 22
; COMPUTE_PGM_RSRC3_GFX90A:TG_SPLIT: 0
	.section	.text._Z23fp32_router_gemm_kernelI14__hip_bfloat16Li128ELi16ELi256ELi3072EEvPfPKT_PKf,"axG",@progbits,_Z23fp32_router_gemm_kernelI14__hip_bfloat16Li128ELi16ELi256ELi3072EEvPfPKT_PKf,comdat
	.protected	_Z23fp32_router_gemm_kernelI14__hip_bfloat16Li128ELi16ELi256ELi3072EEvPfPKT_PKf ; -- Begin function _Z23fp32_router_gemm_kernelI14__hip_bfloat16Li128ELi16ELi256ELi3072EEvPfPKT_PKf
	.globl	_Z23fp32_router_gemm_kernelI14__hip_bfloat16Li128ELi16ELi256ELi3072EEvPfPKT_PKf
	.p2align	8
	.type	_Z23fp32_router_gemm_kernelI14__hip_bfloat16Li128ELi16ELi256ELi3072EEvPfPKT_PKf,@function
_Z23fp32_router_gemm_kernelI14__hip_bfloat16Li128ELi16ELi256ELi3072EEvPfPKT_PKf: ; @_Z23fp32_router_gemm_kernelI14__hip_bfloat16Li128ELi16ELi256ELi3072EEvPfPKT_PKf
; %bb.0:
	s_load_dwordx4 s[0:3], s[4:5], 0x0
	s_load_dwordx2 s[8:9], s[4:5], 0x10
	s_mul_i32 s4, s6, 0xc00
	s_ashr_i32 s5, s4, 31
	s_lshl_b64 s[4:5], s[4:5], 2
	v_lshlrev_b32_e32 v74, 3, v0
	s_waitcnt lgkmcnt(0)
	s_add_u32 s4, s8, s4
	v_or_b32_e32 v1, 0x400, v74
	v_or_b32_e32 v76, 0x800, v74
	s_addc_u32 s5, s9, s5
	s_mov_b64 s[8:9], 0
	v_mov_b32_e32 v15, 0
	v_mov_b32_e32 v75, s3
	s_movk_i32 s7, 0x1000
	s_movk_i32 s10, 0x3000
	;; [unrolled: 1-line block ×5, first 2 shown]
	s_mov_b32 s14, 0x9000
	s_mov_b32 s15, 0xa000
	;; [unrolled: 1-line block ×10, first 2 shown]
	v_mov_b32_e32 v18, 0
	v_mov_b32_e32 v12, 0
	;; [unrolled: 1-line block ×15, first 2 shown]
.LBB47_1:                               ; =>This Inner Loop Header: Depth=1
	s_cmp_eq_u32 s8, 1
	s_cselect_b64 vcc, -1, 0
	s_cmp_eq_u32 s8, 2
	v_cndmask_b32_e32 v2, v74, v1, vcc
	s_cselect_b64 vcc, -1, 0
	v_cndmask_b32_e32 v2, v2, v76, vcc
	v_lshlrev_b32_e32 v9, 2, v2
	v_lshlrev_b32_e32 v13, 1, v2
	global_load_dwordx4 v[2:5], v9, s[4:5] offset:16
	global_load_dwordx4 v[70:73], v9, s[4:5]
	global_load_dwordx4 v[66:69], v13, s[2:3]
	v_add_co_u32_e32 v81, vcc, s2, v13
	v_addc_co_u32_e32 v82, vcc, 0, v75, vcc
	s_add_u32 s8, s8, 1
	s_addc_u32 s9, s9, 0
	s_cmp_eq_u32 s8, 3
	s_waitcnt vmcnt(0)
	v_and_b32_e32 v23, 0xffff0000, v66
	v_lshlrev_b32_e32 v22, 16, v66
	v_pk_mul_f32 v[22:23], v[70:71], v[22:23]
	v_add_f32_e32 v9, v15, v22
	v_add_co_u32_e32 v22, vcc, s7, v81
	v_add_f32_e32 v66, v9, v23
	v_addc_co_u32_e32 v23, vcc, 0, v82, vcc
	global_load_dwordx4 v[50:53], v[22:23], off offset:2048
	s_waitcnt vmcnt(0)
	v_and_b32_e32 v23, 0xffff0000, v50
	v_lshlrev_b32_e32 v22, 16, v50
	v_pk_mul_f32 v[22:23], v[70:71], v[22:23]
	v_add_f32_e32 v9, v18, v22
	v_add_co_u32_e32 v22, vcc, s10, v81
	v_add_f32_e32 v50, v9, v23
	v_addc_co_u32_e32 v23, vcc, 0, v82, vcc
	global_load_dwordx4 v[58:61], v[22:23], off
	s_waitcnt vmcnt(0)
	v_and_b32_e32 v23, 0xffff0000, v58
	v_lshlrev_b32_e32 v22, 16, v58
	v_pk_mul_f32 v[22:23], v[70:71], v[22:23]
	v_add_f32_e32 v9, v12, v22
	v_add_co_u32_e32 v12, vcc, s11, v81
	v_addc_co_u32_e32 v13, vcc, 0, v82, vcc
	global_load_dwordx4 v[62:65], v[12:13], off offset:2048
	v_add_f32_e32 v58, v9, v23
	s_waitcnt vmcnt(0)
	v_and_b32_e32 v13, 0xffff0000, v62
	v_lshlrev_b32_e32 v12, 16, v62
	v_pk_mul_f32 v[12:13], v[70:71], v[12:13]
	v_add_f32_e32 v8, v8, v12
	v_add_f32_e32 v62, v8, v13
	v_add_co_u32_e32 v8, vcc, s12, v81
	v_addc_co_u32_e32 v9, vcc, 0, v82, vcc
	global_load_dwordx4 v[54:57], v[8:9], off
	s_waitcnt vmcnt(0)
	v_and_b32_e32 v9, 0xffff0000, v54
	v_lshlrev_b32_e32 v8, 16, v54
	v_pk_mul_f32 v[8:9], v[70:71], v[8:9]
	v_add_f32_e32 v7, v7, v8
	v_add_co_u32_e32 v8, vcc, s13, v81
	v_add_f32_e32 v54, v7, v9
	v_addc_co_u32_e32 v9, vcc, 0, v82, vcc
	global_load_dwordx4 v[46:49], v[8:9], off offset:2048
	s_waitcnt vmcnt(0)
	v_and_b32_e32 v9, 0xffff0000, v46
	v_lshlrev_b32_e32 v8, 16, v46
	v_pk_mul_f32 v[8:9], v[70:71], v[8:9]
	v_add_f32_e32 v6, v6, v8
	v_add_f32_e32 v83, v6, v9
	v_add_co_u32_e32 v6, vcc, s14, v81
	v_addc_co_u32_e32 v7, vcc, 0, v82, vcc
	global_load_dwordx4 v[42:45], v[6:7], off
	s_waitcnt vmcnt(0)
	v_and_b32_e32 v7, 0xffff0000, v42
	v_lshlrev_b32_e32 v6, 16, v42
	v_pk_mul_f32 v[6:7], v[70:71], v[6:7]
	v_add_f32_e32 v6, v10, v6
	v_add_f32_e32 v84, v6, v7
	v_add_co_u32_e32 v6, vcc, s15, v81
	v_addc_co_u32_e32 v7, vcc, 0, v82, vcc
	global_load_dwordx4 v[38:41], v[6:7], off offset:2048
	s_waitcnt vmcnt(0)
	v_and_b32_e32 v7, 0xffff0000, v38
	v_lshlrev_b32_e32 v6, 16, v38
	v_pk_mul_f32 v[6:7], v[70:71], v[6:7]
	v_add_f32_e32 v6, v11, v6
	v_add_f32_e32 v85, v6, v7
	v_add_co_u32_e32 v6, vcc, s16, v81
	v_addc_co_u32_e32 v7, vcc, 0, v82, vcc
	global_load_dwordx4 v[34:37], v[6:7], off
	s_waitcnt vmcnt(0)
	v_and_b32_e32 v7, 0xffff0000, v34
	v_lshlrev_b32_e32 v6, 16, v34
	v_pk_mul_f32 v[6:7], v[70:71], v[6:7]
	v_add_f32_e32 v6, v14, v6
	v_add_f32_e32 v86, v6, v7
	v_add_co_u32_e32 v6, vcc, s17, v81
	;; [unrolled: 18-line block ×5, first 2 shown]
	v_addc_co_u32_e32 v7, vcc, 0, v82, vcc
	global_load_dwordx4 v[6:9], v[6:7], off offset:2048
	s_waitcnt vmcnt(0)
	v_and_b32_e32 v79, 0xffff0000, v6
	v_lshlrev_b32_e32 v78, 16, v6
	v_pk_mul_f32 v[70:71], v[70:71], v[78:79]
	v_add_f32_e32 v6, v80, v70
	v_add_f32_e32 v78, v6, v71
	v_and_b32_e32 v71, 0xffff0000, v67
	v_lshlrev_b32_e32 v70, 16, v67
	v_pk_mul_f32 v[70:71], v[72:73], v[70:71]
	v_add_f32_e32 v6, v66, v70
	v_and_b32_e32 v67, 0xffff0000, v51
	v_lshlrev_b32_e32 v66, 16, v51
	v_pk_mul_f32 v[66:67], v[72:73], v[66:67]
	v_add_f32_e32 v70, v6, v71
	v_add_f32_e32 v6, v50, v66
	v_and_b32_e32 v51, 0xffff0000, v59
	v_lshlrev_b32_e32 v50, 16, v59
	v_pk_mul_f32 v[50:51], v[72:73], v[50:51]
	v_add_f32_e32 v66, v6, v67
	v_add_f32_e32 v6, v58, v50
	;; [unrolled: 1-line block ×3, first 2 shown]
	v_and_b32_e32 v51, 0xffff0000, v63
	v_lshlrev_b32_e32 v50, 16, v63
	v_pk_mul_f32 v[50:51], v[72:73], v[50:51]
	v_add_f32_e32 v6, v62, v50
	v_add_f32_e32 v59, v6, v51
	v_and_b32_e32 v51, 0xffff0000, v55
	v_lshlrev_b32_e32 v50, 16, v55
	v_pk_mul_f32 v[50:51], v[72:73], v[50:51]
	v_add_f32_e32 v6, v54, v50
	v_add_f32_e32 v54, v6, v51
	;; [unrolled: 5-line block ×28, first 2 shown]
	v_and_b32_e32 v7, 0xffff0000, v8
	v_lshlrev_b32_e32 v6, 16, v8
	v_pk_mul_f32 v[2:3], v[2:3], v[6:7]
	v_and_b32_e32 v7, 0xffff0000, v69
	v_lshlrev_b32_e32 v6, 16, v69
	v_add_f32_e32 v2, v31, v2
	v_pk_mul_f32 v[6:7], v[4:5], v[6:7]
	v_add_f32_e32 v2, v2, v3
	v_add_f32_e32 v3, v35, v6
	;; [unrolled: 1-line block ×3, first 2 shown]
	v_and_b32_e32 v7, 0xffff0000, v53
	v_lshlrev_b32_e32 v6, 16, v53
	v_pk_mul_f32 v[6:7], v[4:5], v[6:7]
	v_add_f32_e32 v3, v39, v6
	v_add_f32_e32 v18, v3, v7
	v_and_b32_e32 v7, 0xffff0000, v61
	v_lshlrev_b32_e32 v6, 16, v61
	v_pk_mul_f32 v[6:7], v[4:5], v[6:7]
	v_add_f32_e32 v3, v43, v6
	v_add_f32_e32 v12, v3, v7
	;; [unrolled: 5-line block ×3, first 2 shown]
	v_and_b32_e32 v7, 0xffff0000, v57
	v_lshlrev_b32_e32 v6, 16, v57
	v_pk_mul_f32 v[6:7], v[4:5], v[6:7]
	v_and_b32_e32 v31, 0xffff0000, v49
	v_lshlrev_b32_e32 v30, 16, v49
	v_add_f32_e32 v3, v51, v6
	v_pk_mul_f32 v[30:31], v[4:5], v[30:31]
	v_add_f32_e32 v7, v3, v7
	v_add_f32_e32 v3, v48, v30
	;; [unrolled: 1-line block ×3, first 2 shown]
	v_and_b32_e32 v31, 0xffff0000, v45
	v_lshlrev_b32_e32 v30, 16, v45
	v_pk_mul_f32 v[30:31], v[4:5], v[30:31]
	v_add_f32_e32 v3, v10, v30
	v_add_f32_e32 v10, v3, v31
	v_and_b32_e32 v31, 0xffff0000, v41
	v_lshlrev_b32_e32 v30, 16, v41
	v_pk_mul_f32 v[30:31], v[4:5], v[30:31]
	v_add_f32_e32 v3, v11, v30
	v_add_f32_e32 v11, v3, v31
	v_and_b32_e32 v31, 0xffff0000, v37
	v_lshlrev_b32_e32 v30, 16, v37
	v_pk_mul_f32 v[30:31], v[4:5], v[30:31]
	v_add_f32_e32 v3, v14, v30
	v_add_f32_e32 v14, v3, v31
	v_and_b32_e32 v31, 0xffff0000, v33
	v_lshlrev_b32_e32 v30, 16, v33
	v_pk_mul_f32 v[30:31], v[4:5], v[30:31]
	v_add_f32_e32 v3, v27, v30
	v_add_f32_e32 v16, v3, v31
	v_and_b32_e32 v31, 0xffff0000, v29
	v_lshlrev_b32_e32 v30, 16, v29
	v_pk_mul_f32 v[28:29], v[4:5], v[30:31]
	v_add_f32_e32 v3, v19, v28
	v_add_f32_e32 v19, v3, v29
	v_and_b32_e32 v29, 0xffff0000, v25
	v_lshlrev_b32_e32 v28, 16, v25
	v_pk_mul_f32 v[28:29], v[4:5], v[28:29]
	v_add_f32_e32 v3, v26, v28
	v_and_b32_e32 v27, 0xffff0000, v21
	v_lshlrev_b32_e32 v26, 16, v21
	v_pk_mul_f32 v[26:27], v[4:5], v[26:27]
	v_add_f32_e32 v20, v3, v29
	v_add_f32_e32 v3, v24, v26
	v_and_b32_e32 v25, 0xffff0000, v17
	v_lshlrev_b32_e32 v24, 16, v17
	v_pk_mul_f32 v[24:25], v[4:5], v[24:25]
	v_add_f32_e32 v77, v3, v27
	v_add_f32_e32 v3, v23, v24
	;; [unrolled: 1-line block ×3, first 2 shown]
	v_and_b32_e32 v25, 0xffff0000, v13
	v_lshlrev_b32_e32 v24, 16, v13
	v_pk_mul_f32 v[24:25], v[4:5], v[24:25]
	v_add_f32_e32 v3, v22, v24
	v_and_b32_e32 v23, 0xffff0000, v9
	v_lshlrev_b32_e32 v22, 16, v9
	v_pk_mul_f32 v[4:5], v[4:5], v[22:23]
	v_add_f32_e32 v2, v2, v4
	v_add_f32_e32 v79, v3, v25
	;; [unrolled: 1-line block ×3, first 2 shown]
	s_cbranch_scc0 .LBB47_1
; %bb.2:
	v_mbcnt_lo_u32_b32 v1, -1, 0
	v_mbcnt_hi_u32_b32 v5, -1, v1
	v_and_b32_e32 v2, 64, v5
	v_xor_b32_e32 v1, 16, v5
	v_add_u32_e32 v9, 64, v2
	v_cmp_lt_i32_e32 vcc, v1, v9
	v_cndmask_b32_e32 v1, v5, v1, vcc
	v_lshlrev_b32_e32 v1, 2, v1
	ds_bpermute_b32 v3, v1, v15
	v_xor_b32_e32 v2, 8, v5
	v_cmp_lt_i32_e32 vcc, v2, v9
	v_cndmask_b32_e32 v2, v5, v2, vcc
	v_lshlrev_b32_e32 v2, 2, v2
	s_waitcnt lgkmcnt(0)
	v_add_f32_e32 v4, v15, v3
	ds_bpermute_b32 v13, v2, v4
	v_xor_b32_e32 v3, 4, v5
	v_cmp_lt_i32_e32 vcc, v3, v9
	v_cndmask_b32_e32 v3, v5, v3, vcc
	v_lshlrev_b32_e32 v3, 2, v3
	s_waitcnt lgkmcnt(0)
	v_add_f32_e32 v13, v4, v13
	;; [unrolled: 7-line block ×4, first 2 shown]
	ds_bpermute_b32 v15, v9, v13
	v_lshrrev_b32_e32 v5, 5, v0
	v_and_b32_e32 v17, 31, v0
	v_cmp_eq_u32_e32 vcc, 0, v17
	v_lshlrev_b32_e32 v5, 2, v5
	s_and_saveexec_b64 s[2:3], vcc
	s_cbranch_execz .LBB47_4
; %bb.3:
	s_waitcnt lgkmcnt(0)
	v_add_f32_e32 v13, v13, v15
	ds_write_b32 v5, v13
.LBB47_4:
	s_or_b64 exec, exec, s[2:3]
	ds_bpermute_b32 v13, v1, v18
	s_waitcnt lgkmcnt(0)
	v_add_f32_e32 v13, v18, v13
	ds_bpermute_b32 v15, v2, v13
	s_waitcnt lgkmcnt(0)
	v_add_f32_e32 v13, v13, v15
	ds_bpermute_b32 v15, v3, v13
	s_waitcnt lgkmcnt(0)
	v_add_f32_e32 v13, v13, v15
	ds_bpermute_b32 v15, v4, v13
	s_waitcnt lgkmcnt(0)
	v_add_f32_e32 v13, v13, v15
	ds_bpermute_b32 v15, v9, v13
	s_and_saveexec_b64 s[2:3], vcc
	s_cbranch_execz .LBB47_6
; %bb.5:
	s_waitcnt lgkmcnt(0)
	v_add_f32_e32 v13, v13, v15
	ds_write_b32 v5, v13 offset:16
.LBB47_6:
	s_or_b64 exec, exec, s[2:3]
	ds_bpermute_b32 v13, v1, v12
	s_waitcnt lgkmcnt(0)
	v_add_f32_e32 v12, v12, v13
	ds_bpermute_b32 v13, v2, v12
	s_waitcnt lgkmcnt(0)
	v_add_f32_e32 v12, v12, v13
	ds_bpermute_b32 v13, v3, v12
	s_waitcnt lgkmcnt(0)
	v_add_f32_e32 v12, v12, v13
	ds_bpermute_b32 v13, v4, v12
	s_waitcnt lgkmcnt(0)
	v_add_f32_e32 v12, v12, v13
	ds_bpermute_b32 v13, v9, v12
	s_and_saveexec_b64 s[2:3], vcc
	s_cbranch_execz .LBB47_8
; %bb.7:
	s_waitcnt lgkmcnt(0)
	v_add_f32_e32 v12, v12, v13
	ds_write_b32 v5, v12 offset:32
.LBB47_8:
	;; [unrolled: 21-line block ×15, first 2 shown]
	s_or_b64 exec, exec, s[2:3]
	v_cmp_eq_u32_e32 vcc, 0, v0
	s_waitcnt lgkmcnt(0)
	s_barrier
	s_and_saveexec_b64 s[2:3], vcc
	s_cbranch_execz .LBB47_36
; %bb.35:
	v_mov_b32_e32 v16, 0
	ds_read_b128 v[0:3], v16
	s_ashr_i32 s7, s6, 31
	ds_read_b128 v[4:7], v16 offset:16
	ds_read_b128 v[8:11], v16 offset:32
	;; [unrolled: 1-line block ×3, first 2 shown]
	s_lshl_b64 s[2:3], s[6:7], 2
	s_add_u32 s0, s0, s2
	s_waitcnt lgkmcnt(3)
	v_add_f32_e32 v0, 0, v0
	v_add_f32_e32 v0, v0, v1
	;; [unrolled: 1-line block ×4, first 2 shown]
	s_addc_u32 s1, s1, s3
	global_store_dword v16, v0, s[0:1]
	s_waitcnt lgkmcnt(2)
	v_add_f32_e32 v0, 0, v4
	v_add_f32_e32 v0, v0, v5
	;; [unrolled: 1-line block ×4, first 2 shown]
	global_store_dword v16, v0, s[0:1] offset:1024
	s_waitcnt lgkmcnt(1)
	v_add_f32_e32 v0, 0, v8
	v_add_f32_e32 v0, v0, v9
	;; [unrolled: 1-line block ×4, first 2 shown]
	global_store_dword v16, v0, s[0:1] offset:2048
	s_waitcnt lgkmcnt(0)
	v_add_f32_e32 v0, 0, v12
	v_add_f32_e32 v4, v0, v13
	ds_read_b128 v[0:3], v16 offset:64
	v_add_f32_e32 v4, v4, v14
	v_add_f32_e32 v4, v4, v15
	global_store_dword v16, v4, s[0:1] offset:3072
	ds_read_b128 v[4:7], v16 offset:80
	s_waitcnt lgkmcnt(1)
	v_add_f32_e32 v0, 0, v0
	v_add_f32_e32 v0, v0, v1
	;; [unrolled: 1-line block ×4, first 2 shown]
	v_mov_b32_e32 v8, 0x1000
	global_store_dword v8, v0, s[0:1]
	s_waitcnt lgkmcnt(0)
	v_add_f32_e32 v0, 0, v4
	v_add_f32_e32 v4, v0, v5
	ds_read_b128 v[0:3], v16 offset:96
	v_add_f32_e32 v4, v4, v6
	v_add_f32_e32 v4, v4, v7
	global_store_dword v8, v4, s[0:1] offset:1024
	ds_read_b128 v[4:7], v16 offset:112
	s_waitcnt lgkmcnt(1)
	v_add_f32_e32 v0, 0, v0
	v_add_f32_e32 v0, v0, v1
	;; [unrolled: 1-line block ×4, first 2 shown]
	global_store_dword v8, v0, s[0:1] offset:2048
	s_waitcnt lgkmcnt(0)
	v_add_f32_e32 v0, 0, v4
	v_add_f32_e32 v4, v0, v5
	ds_read_b128 v[0:3], v16 offset:128
	v_add_f32_e32 v4, v4, v6
	v_add_f32_e32 v4, v4, v7
	global_store_dword v8, v4, s[0:1] offset:3072
	ds_read_b128 v[4:7], v16 offset:144
	s_waitcnt lgkmcnt(1)
	v_add_f32_e32 v0, 0, v0
	v_add_f32_e32 v0, v0, v1
	;; [unrolled: 1-line block ×4, first 2 shown]
	v_mov_b32_e32 v12, 0x2000
	global_store_dword v12, v0, s[0:1]
	ds_read_b128 v[0:3], v16 offset:160
	ds_read_b128 v[8:11], v16 offset:176
	s_waitcnt lgkmcnt(2)
	v_add_f32_e32 v4, 0, v4
	v_add_f32_e32 v4, v4, v5
	;; [unrolled: 1-line block ×3, first 2 shown]
	s_waitcnt lgkmcnt(1)
	v_add_f32_e32 v0, 0, v0
	v_add_f32_e32 v0, v0, v1
	;; [unrolled: 1-line block ×5, first 2 shown]
	global_store_dword v12, v0, s[0:1] offset:2048
	s_waitcnt lgkmcnt(0)
	v_add_f32_e32 v0, 0, v8
	global_store_dword v12, v4, s[0:1] offset:1024
	v_add_f32_e32 v4, v0, v9
	ds_read_b128 v[0:3], v16 offset:192
	v_add_f32_e32 v4, v4, v10
	v_add_f32_e32 v4, v4, v11
	global_store_dword v12, v4, s[0:1] offset:3072
	ds_read_b128 v[4:7], v16 offset:208
	s_waitcnt lgkmcnt(1)
	v_add_f32_e32 v0, 0, v0
	v_add_f32_e32 v0, v0, v1
	v_add_f32_e32 v0, v0, v2
	v_add_f32_e32 v0, v0, v3
	v_mov_b32_e32 v8, 0x3000
	global_store_dword v8, v0, s[0:1]
	s_waitcnt lgkmcnt(0)
	v_add_f32_e32 v0, 0, v4
	v_add_f32_e32 v4, v0, v5
	ds_read_b128 v[0:3], v16 offset:224
	v_add_f32_e32 v4, v4, v6
	v_add_f32_e32 v4, v4, v7
	global_store_dword v8, v4, s[0:1] offset:1024
	ds_read_b128 v[4:7], v16 offset:240
	s_waitcnt lgkmcnt(1)
	v_add_f32_e32 v0, 0, v0
	v_add_f32_e32 v0, v0, v1
	v_add_f32_e32 v0, v0, v2
	v_add_f32_e32 v0, v0, v3
	global_store_dword v8, v0, s[0:1] offset:2048
	s_waitcnt lgkmcnt(0)
	v_add_f32_e32 v0, 0, v4
	v_add_f32_e32 v0, v0, v5
	;; [unrolled: 1-line block ×4, first 2 shown]
	global_store_dword v8, v0, s[0:1] offset:3072
.LBB47_36:
	s_endpgm
	.section	.rodata,"a",@progbits
	.p2align	6, 0x0
	.amdhsa_kernel _Z23fp32_router_gemm_kernelI14__hip_bfloat16Li128ELi16ELi256ELi3072EEvPfPKT_PKf
		.amdhsa_group_segment_fixed_size 256
		.amdhsa_private_segment_fixed_size 0
		.amdhsa_kernarg_size 24
		.amdhsa_user_sgpr_count 6
		.amdhsa_user_sgpr_private_segment_buffer 1
		.amdhsa_user_sgpr_dispatch_ptr 0
		.amdhsa_user_sgpr_queue_ptr 0
		.amdhsa_user_sgpr_kernarg_segment_ptr 1
		.amdhsa_user_sgpr_dispatch_id 0
		.amdhsa_user_sgpr_flat_scratch_init 0
		.amdhsa_user_sgpr_kernarg_preload_length 0
		.amdhsa_user_sgpr_kernarg_preload_offset 0
		.amdhsa_user_sgpr_private_segment_size 0
		.amdhsa_uses_dynamic_stack 0
		.amdhsa_system_sgpr_private_segment_wavefront_offset 0
		.amdhsa_system_sgpr_workgroup_id_x 1
		.amdhsa_system_sgpr_workgroup_id_y 0
		.amdhsa_system_sgpr_workgroup_id_z 0
		.amdhsa_system_sgpr_workgroup_info 0
		.amdhsa_system_vgpr_workitem_id 0
		.amdhsa_next_free_vgpr 92
		.amdhsa_next_free_sgpr 24
		.amdhsa_accum_offset 92
		.amdhsa_reserve_vcc 1
		.amdhsa_reserve_flat_scratch 0
		.amdhsa_float_round_mode_32 0
		.amdhsa_float_round_mode_16_64 0
		.amdhsa_float_denorm_mode_32 3
		.amdhsa_float_denorm_mode_16_64 3
		.amdhsa_dx10_clamp 1
		.amdhsa_ieee_mode 1
		.amdhsa_fp16_overflow 0
		.amdhsa_tg_split 0
		.amdhsa_exception_fp_ieee_invalid_op 0
		.amdhsa_exception_fp_denorm_src 0
		.amdhsa_exception_fp_ieee_div_zero 0
		.amdhsa_exception_fp_ieee_overflow 0
		.amdhsa_exception_fp_ieee_underflow 0
		.amdhsa_exception_fp_ieee_inexact 0
		.amdhsa_exception_int_div_zero 0
	.end_amdhsa_kernel
	.section	.text._Z23fp32_router_gemm_kernelI14__hip_bfloat16Li128ELi16ELi256ELi3072EEvPfPKT_PKf,"axG",@progbits,_Z23fp32_router_gemm_kernelI14__hip_bfloat16Li128ELi16ELi256ELi3072EEvPfPKT_PKf,comdat
.Lfunc_end47:
	.size	_Z23fp32_router_gemm_kernelI14__hip_bfloat16Li128ELi16ELi256ELi3072EEvPfPKT_PKf, .Lfunc_end47-_Z23fp32_router_gemm_kernelI14__hip_bfloat16Li128ELi16ELi256ELi3072EEvPfPKT_PKf
                                        ; -- End function
	.section	.AMDGPU.csdata,"",@progbits
; Kernel info:
; codeLenInByte = 4776
; NumSgprs: 28
; NumVgprs: 92
; NumAgprs: 0
; TotalNumVgprs: 92
; ScratchSize: 0
; MemoryBound: 0
; FloatMode: 240
; IeeeMode: 1
; LDSByteSize: 256 bytes/workgroup (compile time only)
; SGPRBlocks: 3
; VGPRBlocks: 11
; NumSGPRsForWavesPerEU: 28
; NumVGPRsForWavesPerEU: 92
; AccumOffset: 92
; Occupancy: 5
; WaveLimiterHint : 1
; COMPUTE_PGM_RSRC2:SCRATCH_EN: 0
; COMPUTE_PGM_RSRC2:USER_SGPR: 6
; COMPUTE_PGM_RSRC2:TRAP_HANDLER: 0
; COMPUTE_PGM_RSRC2:TGID_X_EN: 1
; COMPUTE_PGM_RSRC2:TGID_Y_EN: 0
; COMPUTE_PGM_RSRC2:TGID_Z_EN: 0
; COMPUTE_PGM_RSRC2:TIDIG_COMP_CNT: 0
; COMPUTE_PGM_RSRC3_GFX90A:ACCUM_OFFSET: 22
; COMPUTE_PGM_RSRC3_GFX90A:TG_SPLIT: 0
	.section	.text._Z23fp32_router_gemm_kernelI14__hip_bfloat16Li128ELi17ELi256ELi3072EEvPfPKT_PKf,"axG",@progbits,_Z23fp32_router_gemm_kernelI14__hip_bfloat16Li128ELi17ELi256ELi3072EEvPfPKT_PKf,comdat
	.protected	_Z23fp32_router_gemm_kernelI14__hip_bfloat16Li128ELi17ELi256ELi3072EEvPfPKT_PKf ; -- Begin function _Z23fp32_router_gemm_kernelI14__hip_bfloat16Li128ELi17ELi256ELi3072EEvPfPKT_PKf
	.globl	_Z23fp32_router_gemm_kernelI14__hip_bfloat16Li128ELi17ELi256ELi3072EEvPfPKT_PKf
	.p2align	8
	.type	_Z23fp32_router_gemm_kernelI14__hip_bfloat16Li128ELi17ELi256ELi3072EEvPfPKT_PKf,@function
_Z23fp32_router_gemm_kernelI14__hip_bfloat16Li128ELi17ELi256ELi3072EEvPfPKT_PKf: ; @_Z23fp32_router_gemm_kernelI14__hip_bfloat16Li128ELi17ELi256ELi3072EEvPfPKT_PKf
; %bb.0:
	s_load_dwordx4 s[0:3], s[4:5], 0x0
	s_load_dwordx2 s[8:9], s[4:5], 0x10
	s_mul_i32 s4, s6, 0xc00
	s_ashr_i32 s5, s4, 31
	s_lshl_b64 s[4:5], s[4:5], 2
	v_lshlrev_b32_e32 v10, 3, v0
	s_waitcnt lgkmcnt(0)
	s_add_u32 s4, s8, s4
	v_or_b32_e32 v1, 0x400, v10
	v_or_b32_e32 v12, 0x800, v10
	s_addc_u32 s5, s9, s5
	s_mov_b64 s[8:9], 0
	v_mov_b32_e32 v28, 0
	v_mov_b32_e32 v29, s3
	s_movk_i32 s7, 0x1000
	s_movk_i32 s10, 0x3000
	;; [unrolled: 1-line block ×5, first 2 shown]
	s_mov_b32 s14, 0x9000
	s_mov_b32 s15, 0xa000
	;; [unrolled: 1-line block ×11, first 2 shown]
	v_mov_b32_e32 v27, 0
	v_mov_b32_e32 v26, 0
	;; [unrolled: 1-line block ×16, first 2 shown]
.LBB48_1:                               ; =>This Inner Loop Header: Depth=1
	s_cmp_eq_u32 s8, 1
	s_cselect_b64 vcc, -1, 0
	s_cmp_eq_u32 s8, 2
	v_cndmask_b32_e32 v2, v10, v1, vcc
	s_cselect_b64 vcc, -1, 0
	v_cndmask_b32_e32 v2, v2, v12, vcc
	v_lshlrev_b32_e32 v36, 2, v2
	v_lshlrev_b32_e32 v37, 1, v2
	global_load_dwordx4 v[2:5], v36, s[4:5] offset:16
	global_load_dwordx4 v[6:9], v36, s[4:5]
	global_load_dwordx4 v[32:35], v37, s[2:3]
	v_add_co_u32_e32 v30, vcc, s2, v37
	v_addc_co_u32_e32 v31, vcc, 0, v29, vcc
	s_add_u32 s8, s8, 1
	s_addc_u32 s9, s9, 0
	s_cmp_eq_u32 s8, 3
	s_waitcnt vmcnt(0)
	v_and_b32_e32 v37, 0xffff0000, v32
	v_lshlrev_b32_e32 v36, 16, v32
	v_pk_mul_f32 v[36:37], v[6:7], v[36:37]
	v_add_f32_e32 v28, v36, v28
	v_add_f32_e32 v28, v37, v28
	v_and_b32_e32 v37, 0xffff0000, v33
	v_lshlrev_b32_e32 v36, 16, v33
	v_pk_mul_f32 v[32:33], v[8:9], v[36:37]
	v_add_f32_e32 v28, v32, v28
	v_add_f32_e32 v28, v33, v28
	v_and_b32_e32 v33, 0xffff0000, v34
	v_lshlrev_b32_e32 v32, 16, v34
	v_pk_mul_f32 v[32:33], v[2:3], v[32:33]
	v_add_f32_e32 v28, v32, v28
	v_add_f32_e32 v28, v33, v28
	v_and_b32_e32 v33, 0xffff0000, v35
	v_lshlrev_b32_e32 v32, 16, v35
	v_pk_mul_f32 v[32:33], v[4:5], v[32:33]
	v_add_f32_e32 v28, v32, v28
	v_add_co_u32_e32 v32, vcc, s7, v30
	v_add_f32_e32 v28, v33, v28
	v_addc_co_u32_e32 v33, vcc, 0, v31, vcc
	global_load_dwordx4 v[32:35], v[32:33], off offset:2048
	s_waitcnt vmcnt(0)
	v_and_b32_e32 v37, 0xffff0000, v32
	v_lshlrev_b32_e32 v36, 16, v32
	v_pk_mul_f32 v[36:37], v[6:7], v[36:37]
	v_add_f32_e32 v27, v36, v27
	v_add_f32_e32 v27, v37, v27
	v_and_b32_e32 v37, 0xffff0000, v33
	v_lshlrev_b32_e32 v36, 16, v33
	v_pk_mul_f32 v[32:33], v[8:9], v[36:37]
	v_add_f32_e32 v27, v32, v27
	v_add_f32_e32 v27, v33, v27
	v_and_b32_e32 v33, 0xffff0000, v34
	v_lshlrev_b32_e32 v32, 16, v34
	v_pk_mul_f32 v[32:33], v[2:3], v[32:33]
	v_add_f32_e32 v27, v32, v27
	v_add_f32_e32 v27, v33, v27
	v_and_b32_e32 v33, 0xffff0000, v35
	v_lshlrev_b32_e32 v32, 16, v35
	v_pk_mul_f32 v[32:33], v[4:5], v[32:33]
	v_add_f32_e32 v27, v32, v27
	v_add_co_u32_e32 v32, vcc, s10, v30
	v_add_f32_e32 v27, v33, v27
	v_addc_co_u32_e32 v33, vcc, 0, v31, vcc
	global_load_dwordx4 v[32:35], v[32:33], off
	s_waitcnt vmcnt(0)
	v_and_b32_e32 v37, 0xffff0000, v32
	v_lshlrev_b32_e32 v36, 16, v32
	v_pk_mul_f32 v[36:37], v[6:7], v[36:37]
	v_add_f32_e32 v26, v36, v26
	v_add_f32_e32 v26, v37, v26
	v_and_b32_e32 v37, 0xffff0000, v33
	v_lshlrev_b32_e32 v36, 16, v33
	v_pk_mul_f32 v[32:33], v[8:9], v[36:37]
	v_add_f32_e32 v26, v32, v26
	v_add_f32_e32 v26, v33, v26
	v_and_b32_e32 v33, 0xffff0000, v34
	v_lshlrev_b32_e32 v32, 16, v34
	v_pk_mul_f32 v[32:33], v[2:3], v[32:33]
	v_add_f32_e32 v26, v32, v26
	v_add_f32_e32 v26, v33, v26
	v_and_b32_e32 v33, 0xffff0000, v35
	v_lshlrev_b32_e32 v32, 16, v35
	v_pk_mul_f32 v[32:33], v[4:5], v[32:33]
	v_add_f32_e32 v26, v32, v26
	v_add_co_u32_e32 v32, vcc, s11, v30
	v_add_f32_e32 v26, v33, v26
	v_addc_co_u32_e32 v33, vcc, 0, v31, vcc
	global_load_dwordx4 v[32:35], v[32:33], off offset:2048
	s_waitcnt vmcnt(0)
	v_and_b32_e32 v37, 0xffff0000, v32
	v_lshlrev_b32_e32 v36, 16, v32
	v_pk_mul_f32 v[36:37], v[6:7], v[36:37]
	v_add_f32_e32 v25, v36, v25
	v_add_f32_e32 v25, v37, v25
	v_and_b32_e32 v37, 0xffff0000, v33
	v_lshlrev_b32_e32 v36, 16, v33
	v_pk_mul_f32 v[32:33], v[8:9], v[36:37]
	v_add_f32_e32 v25, v32, v25
	v_add_f32_e32 v25, v33, v25
	v_and_b32_e32 v33, 0xffff0000, v34
	v_lshlrev_b32_e32 v32, 16, v34
	v_pk_mul_f32 v[32:33], v[2:3], v[32:33]
	v_add_f32_e32 v25, v32, v25
	v_add_f32_e32 v25, v33, v25
	v_and_b32_e32 v33, 0xffff0000, v35
	v_lshlrev_b32_e32 v32, 16, v35
	v_pk_mul_f32 v[32:33], v[4:5], v[32:33]
	v_add_f32_e32 v25, v32, v25
	v_add_co_u32_e32 v32, vcc, s12, v30
	v_add_f32_e32 v25, v33, v25
	v_addc_co_u32_e32 v33, vcc, 0, v31, vcc
	global_load_dwordx4 v[32:35], v[32:33], off
	;; [unrolled: 48-line block ×7, first 2 shown]
	s_waitcnt vmcnt(0)
	v_and_b32_e32 v37, 0xffff0000, v32
	v_lshlrev_b32_e32 v36, 16, v32
	v_pk_mul_f32 v[36:37], v[6:7], v[36:37]
	v_add_f32_e32 v13, v36, v13
	v_add_f32_e32 v13, v37, v13
	v_and_b32_e32 v37, 0xffff0000, v33
	v_lshlrev_b32_e32 v36, 16, v33
	v_pk_mul_f32 v[32:33], v[8:9], v[36:37]
	v_add_f32_e32 v13, v32, v13
	v_add_f32_e32 v13, v33, v13
	;; [unrolled: 5-line block ×3, first 2 shown]
	v_and_b32_e32 v33, 0xffff0000, v35
	v_lshlrev_b32_e32 v32, 16, v35
	v_pk_mul_f32 v[32:33], v[4:5], v[32:33]
	v_add_f32_e32 v13, v32, v13
	v_add_co_u32_e32 v32, vcc, s23, v30
	v_add_f32_e32 v13, v33, v13
	v_addc_co_u32_e32 v33, vcc, 0, v31, vcc
	global_load_dwordx4 v[32:35], v[32:33], off offset:2048
	v_add_co_u32_e32 v30, vcc, s24, v30
	v_addc_co_u32_e32 v31, vcc, 0, v31, vcc
	s_waitcnt vmcnt(0)
	v_and_b32_e32 v37, 0xffff0000, v32
	v_lshlrev_b32_e32 v36, 16, v32
	v_pk_mul_f32 v[36:37], v[6:7], v[36:37]
	v_add_f32_e32 v11, v36, v11
	v_add_f32_e32 v11, v37, v11
	v_and_b32_e32 v37, 0xffff0000, v33
	v_lshlrev_b32_e32 v36, 16, v33
	v_pk_mul_f32 v[32:33], v[8:9], v[36:37]
	v_add_f32_e32 v11, v32, v11
	v_add_f32_e32 v11, v33, v11
	;; [unrolled: 5-line block ×4, first 2 shown]
	global_load_dwordx4 v[30:33], v[30:31], off
	s_waitcnt vmcnt(0)
	v_and_b32_e32 v35, 0xffff0000, v30
	v_lshlrev_b32_e32 v34, 16, v30
	v_pk_mul_f32 v[6:7], v[6:7], v[34:35]
	v_add_f32_e32 v6, v6, v16
	v_add_f32_e32 v16, v7, v6
	v_and_b32_e32 v7, 0xffff0000, v31
	v_lshlrev_b32_e32 v6, 16, v31
	v_pk_mul_f32 v[6:7], v[8:9], v[6:7]
	v_add_f32_e32 v6, v6, v16
	v_add_f32_e32 v8, v7, v6
	;; [unrolled: 5-line block ×4, first 2 shown]
	s_cbranch_scc0 .LBB48_1
; %bb.2:
	v_mbcnt_lo_u32_b32 v1, -1, 0
	v_mbcnt_hi_u32_b32 v5, -1, v1
	v_and_b32_e32 v2, 64, v5
	v_xor_b32_e32 v1, 16, v5
	v_add_u32_e32 v6, 64, v2
	v_cmp_lt_i32_e32 vcc, v1, v6
	v_cndmask_b32_e32 v1, v5, v1, vcc
	v_lshlrev_b32_e32 v1, 2, v1
	ds_bpermute_b32 v3, v1, v28
	v_xor_b32_e32 v2, 8, v5
	v_cmp_lt_i32_e32 vcc, v2, v6
	v_cndmask_b32_e32 v2, v5, v2, vcc
	v_lshlrev_b32_e32 v2, 2, v2
	s_waitcnt lgkmcnt(0)
	v_add_f32_e32 v4, v28, v3
	ds_bpermute_b32 v7, v2, v4
	v_xor_b32_e32 v3, 4, v5
	v_cmp_lt_i32_e32 vcc, v3, v6
	v_cndmask_b32_e32 v3, v5, v3, vcc
	v_lshlrev_b32_e32 v3, 2, v3
	s_waitcnt lgkmcnt(0)
	v_add_f32_e32 v7, v4, v7
	;; [unrolled: 7-line block ×4, first 2 shown]
	ds_bpermute_b32 v8, v6, v7
	v_lshrrev_b32_e32 v5, 5, v0
	v_and_b32_e32 v9, 31, v0
	v_cmp_eq_u32_e32 vcc, 0, v9
	v_lshlrev_b32_e32 v5, 2, v5
	s_and_saveexec_b64 s[2:3], vcc
	s_cbranch_execz .LBB48_4
; %bb.3:
	s_waitcnt lgkmcnt(0)
	v_add_f32_e32 v7, v7, v8
	ds_write_b32 v5, v7
.LBB48_4:
	s_or_b64 exec, exec, s[2:3]
	ds_bpermute_b32 v7, v1, v27
	s_waitcnt lgkmcnt(0)
	v_add_f32_e32 v7, v27, v7
	ds_bpermute_b32 v8, v2, v7
	s_waitcnt lgkmcnt(0)
	v_add_f32_e32 v7, v7, v8
	ds_bpermute_b32 v8, v3, v7
	s_waitcnt lgkmcnt(0)
	v_add_f32_e32 v7, v7, v8
	ds_bpermute_b32 v8, v4, v7
	s_waitcnt lgkmcnt(0)
	v_add_f32_e32 v7, v7, v8
	ds_bpermute_b32 v8, v6, v7
	s_and_saveexec_b64 s[2:3], vcc
	s_cbranch_execz .LBB48_6
; %bb.5:
	s_waitcnt lgkmcnt(0)
	v_add_f32_e32 v7, v7, v8
	ds_write_b32 v5, v7 offset:16
.LBB48_6:
	s_or_b64 exec, exec, s[2:3]
	ds_bpermute_b32 v7, v1, v26
	s_waitcnt lgkmcnt(0)
	v_add_f32_e32 v7, v26, v7
	ds_bpermute_b32 v8, v2, v7
	s_waitcnt lgkmcnt(0)
	v_add_f32_e32 v7, v7, v8
	ds_bpermute_b32 v8, v3, v7
	s_waitcnt lgkmcnt(0)
	v_add_f32_e32 v7, v7, v8
	ds_bpermute_b32 v8, v4, v7
	s_waitcnt lgkmcnt(0)
	v_add_f32_e32 v7, v7, v8
	ds_bpermute_b32 v8, v6, v7
	s_and_saveexec_b64 s[2:3], vcc
	s_cbranch_execz .LBB48_8
; %bb.7:
	s_waitcnt lgkmcnt(0)
	v_add_f32_e32 v7, v7, v8
	ds_write_b32 v5, v7 offset:32
.LBB48_8:
	;; [unrolled: 21-line block ×16, first 2 shown]
	s_or_b64 exec, exec, s[2:3]
	v_cmp_eq_u32_e32 vcc, 0, v0
	s_waitcnt lgkmcnt(0)
	s_barrier
	s_and_saveexec_b64 s[2:3], vcc
	s_cbranch_execz .LBB48_38
; %bb.37:
	v_mov_b32_e32 v16, 0
	ds_read_b128 v[0:3], v16
	s_ashr_i32 s7, s6, 31
	ds_read_b128 v[4:7], v16 offset:16
	ds_read_b128 v[8:11], v16 offset:32
	;; [unrolled: 1-line block ×3, first 2 shown]
	s_lshl_b64 s[2:3], s[6:7], 2
	s_add_u32 s0, s0, s2
	s_waitcnt lgkmcnt(3)
	v_add_f32_e32 v0, 0, v0
	v_add_f32_e32 v0, v0, v1
	;; [unrolled: 1-line block ×4, first 2 shown]
	s_addc_u32 s1, s1, s3
	global_store_dword v16, v0, s[0:1]
	s_waitcnt lgkmcnt(2)
	v_add_f32_e32 v0, 0, v4
	v_add_f32_e32 v0, v0, v5
	;; [unrolled: 1-line block ×4, first 2 shown]
	global_store_dword v16, v0, s[0:1] offset:1024
	s_waitcnt lgkmcnt(1)
	v_add_f32_e32 v0, 0, v8
	v_add_f32_e32 v0, v0, v9
	;; [unrolled: 1-line block ×4, first 2 shown]
	global_store_dword v16, v0, s[0:1] offset:2048
	s_waitcnt lgkmcnt(0)
	v_add_f32_e32 v0, 0, v12
	v_add_f32_e32 v4, v0, v13
	ds_read_b128 v[0:3], v16 offset:64
	v_add_f32_e32 v4, v4, v14
	v_add_f32_e32 v4, v4, v15
	global_store_dword v16, v4, s[0:1] offset:3072
	ds_read_b128 v[4:7], v16 offset:80
	s_waitcnt lgkmcnt(1)
	v_add_f32_e32 v0, 0, v0
	v_add_f32_e32 v0, v0, v1
	v_add_f32_e32 v0, v0, v2
	v_add_f32_e32 v0, v0, v3
	v_mov_b32_e32 v8, 0x1000
	global_store_dword v8, v0, s[0:1]
	s_waitcnt lgkmcnt(0)
	v_add_f32_e32 v0, 0, v4
	v_add_f32_e32 v4, v0, v5
	ds_read_b128 v[0:3], v16 offset:96
	v_add_f32_e32 v4, v4, v6
	v_add_f32_e32 v4, v4, v7
	global_store_dword v8, v4, s[0:1] offset:1024
	ds_read_b128 v[4:7], v16 offset:112
	s_waitcnt lgkmcnt(1)
	v_add_f32_e32 v0, 0, v0
	v_add_f32_e32 v0, v0, v1
	;; [unrolled: 1-line block ×4, first 2 shown]
	global_store_dword v8, v0, s[0:1] offset:2048
	s_waitcnt lgkmcnt(0)
	v_add_f32_e32 v0, 0, v4
	v_add_f32_e32 v4, v0, v5
	ds_read_b128 v[0:3], v16 offset:128
	v_add_f32_e32 v4, v4, v6
	v_add_f32_e32 v4, v4, v7
	global_store_dword v8, v4, s[0:1] offset:3072
	ds_read_b128 v[4:7], v16 offset:144
	s_waitcnt lgkmcnt(1)
	v_add_f32_e32 v0, 0, v0
	v_add_f32_e32 v0, v0, v1
	;; [unrolled: 1-line block ×4, first 2 shown]
	v_mov_b32_e32 v12, 0x2000
	global_store_dword v12, v0, s[0:1]
	ds_read_b128 v[0:3], v16 offset:160
	ds_read_b128 v[8:11], v16 offset:176
	s_waitcnt lgkmcnt(2)
	v_add_f32_e32 v4, 0, v4
	v_add_f32_e32 v4, v4, v5
	;; [unrolled: 1-line block ×3, first 2 shown]
	s_waitcnt lgkmcnt(1)
	v_add_f32_e32 v0, 0, v0
	v_add_f32_e32 v0, v0, v1
	;; [unrolled: 1-line block ×5, first 2 shown]
	global_store_dword v12, v0, s[0:1] offset:2048
	s_waitcnt lgkmcnt(0)
	v_add_f32_e32 v0, 0, v8
	global_store_dword v12, v4, s[0:1] offset:1024
	v_add_f32_e32 v4, v0, v9
	ds_read_b128 v[0:3], v16 offset:192
	v_add_f32_e32 v4, v4, v10
	v_add_f32_e32 v4, v4, v11
	global_store_dword v12, v4, s[0:1] offset:3072
	ds_read_b128 v[4:7], v16 offset:208
	s_waitcnt lgkmcnt(1)
	v_add_f32_e32 v0, 0, v0
	v_add_f32_e32 v0, v0, v1
	;; [unrolled: 1-line block ×4, first 2 shown]
	v_mov_b32_e32 v8, 0x3000
	global_store_dword v8, v0, s[0:1]
	s_waitcnt lgkmcnt(0)
	v_add_f32_e32 v0, 0, v4
	v_add_f32_e32 v4, v0, v5
	ds_read_b128 v[0:3], v16 offset:224
	v_add_f32_e32 v4, v4, v6
	v_add_f32_e32 v4, v4, v7
	global_store_dword v8, v4, s[0:1] offset:1024
	ds_read_b128 v[4:7], v16 offset:240
	s_waitcnt lgkmcnt(1)
	v_add_f32_e32 v0, 0, v0
	v_add_f32_e32 v0, v0, v1
	;; [unrolled: 1-line block ×4, first 2 shown]
	global_store_dword v8, v0, s[0:1] offset:2048
	ds_read_b128 v[0:3], v16 offset:256
	s_waitcnt lgkmcnt(1)
	v_add_f32_e32 v4, 0, v4
	v_add_f32_e32 v4, v4, v5
	;; [unrolled: 1-line block ×4, first 2 shown]
	s_waitcnt lgkmcnt(0)
	v_add_f32_e32 v0, 0, v0
	v_add_f32_e32 v0, v0, v1
	v_add_f32_e32 v0, v0, v2
	v_add_f32_e32 v0, v0, v3
	v_mov_b32_e32 v1, 0x4000
	global_store_dword v8, v4, s[0:1] offset:3072
	global_store_dword v1, v0, s[0:1]
.LBB48_38:
	s_endpgm
	.section	.rodata,"a",@progbits
	.p2align	6, 0x0
	.amdhsa_kernel _Z23fp32_router_gemm_kernelI14__hip_bfloat16Li128ELi17ELi256ELi3072EEvPfPKT_PKf
		.amdhsa_group_segment_fixed_size 272
		.amdhsa_private_segment_fixed_size 0
		.amdhsa_kernarg_size 24
		.amdhsa_user_sgpr_count 6
		.amdhsa_user_sgpr_private_segment_buffer 1
		.amdhsa_user_sgpr_dispatch_ptr 0
		.amdhsa_user_sgpr_queue_ptr 0
		.amdhsa_user_sgpr_kernarg_segment_ptr 1
		.amdhsa_user_sgpr_dispatch_id 0
		.amdhsa_user_sgpr_flat_scratch_init 0
		.amdhsa_user_sgpr_kernarg_preload_length 0
		.amdhsa_user_sgpr_kernarg_preload_offset 0
		.amdhsa_user_sgpr_private_segment_size 0
		.amdhsa_uses_dynamic_stack 0
		.amdhsa_system_sgpr_private_segment_wavefront_offset 0
		.amdhsa_system_sgpr_workgroup_id_x 1
		.amdhsa_system_sgpr_workgroup_id_y 0
		.amdhsa_system_sgpr_workgroup_id_z 0
		.amdhsa_system_sgpr_workgroup_info 0
		.amdhsa_system_vgpr_workitem_id 0
		.amdhsa_next_free_vgpr 38
		.amdhsa_next_free_sgpr 25
		.amdhsa_accum_offset 40
		.amdhsa_reserve_vcc 1
		.amdhsa_reserve_flat_scratch 0
		.amdhsa_float_round_mode_32 0
		.amdhsa_float_round_mode_16_64 0
		.amdhsa_float_denorm_mode_32 3
		.amdhsa_float_denorm_mode_16_64 3
		.amdhsa_dx10_clamp 1
		.amdhsa_ieee_mode 1
		.amdhsa_fp16_overflow 0
		.amdhsa_tg_split 0
		.amdhsa_exception_fp_ieee_invalid_op 0
		.amdhsa_exception_fp_denorm_src 0
		.amdhsa_exception_fp_ieee_div_zero 0
		.amdhsa_exception_fp_ieee_overflow 0
		.amdhsa_exception_fp_ieee_underflow 0
		.amdhsa_exception_fp_ieee_inexact 0
		.amdhsa_exception_int_div_zero 0
	.end_amdhsa_kernel
	.section	.text._Z23fp32_router_gemm_kernelI14__hip_bfloat16Li128ELi17ELi256ELi3072EEvPfPKT_PKf,"axG",@progbits,_Z23fp32_router_gemm_kernelI14__hip_bfloat16Li128ELi17ELi256ELi3072EEvPfPKT_PKf,comdat
.Lfunc_end48:
	.size	_Z23fp32_router_gemm_kernelI14__hip_bfloat16Li128ELi17ELi256ELi3072EEvPfPKT_PKf, .Lfunc_end48-_Z23fp32_router_gemm_kernelI14__hip_bfloat16Li128ELi17ELi256ELi3072EEvPfPKT_PKf
                                        ; -- End function
	.section	.AMDGPU.csdata,"",@progbits
; Kernel info:
; codeLenInByte = 5064
; NumSgprs: 29
; NumVgprs: 38
; NumAgprs: 0
; TotalNumVgprs: 38
; ScratchSize: 0
; MemoryBound: 0
; FloatMode: 240
; IeeeMode: 1
; LDSByteSize: 272 bytes/workgroup (compile time only)
; SGPRBlocks: 3
; VGPRBlocks: 4
; NumSGPRsForWavesPerEU: 29
; NumVGPRsForWavesPerEU: 38
; AccumOffset: 40
; Occupancy: 8
; WaveLimiterHint : 1
; COMPUTE_PGM_RSRC2:SCRATCH_EN: 0
; COMPUTE_PGM_RSRC2:USER_SGPR: 6
; COMPUTE_PGM_RSRC2:TRAP_HANDLER: 0
; COMPUTE_PGM_RSRC2:TGID_X_EN: 1
; COMPUTE_PGM_RSRC2:TGID_Y_EN: 0
; COMPUTE_PGM_RSRC2:TGID_Z_EN: 0
; COMPUTE_PGM_RSRC2:TIDIG_COMP_CNT: 0
; COMPUTE_PGM_RSRC3_GFX90A:ACCUM_OFFSET: 9
; COMPUTE_PGM_RSRC3_GFX90A:TG_SPLIT: 0
	.section	.text._Z23fp32_router_gemm_kernelI14__hip_bfloat16Li128ELi18ELi256ELi3072EEvPfPKT_PKf,"axG",@progbits,_Z23fp32_router_gemm_kernelI14__hip_bfloat16Li128ELi18ELi256ELi3072EEvPfPKT_PKf,comdat
	.protected	_Z23fp32_router_gemm_kernelI14__hip_bfloat16Li128ELi18ELi256ELi3072EEvPfPKT_PKf ; -- Begin function _Z23fp32_router_gemm_kernelI14__hip_bfloat16Li128ELi18ELi256ELi3072EEvPfPKT_PKf
	.globl	_Z23fp32_router_gemm_kernelI14__hip_bfloat16Li128ELi18ELi256ELi3072EEvPfPKT_PKf
	.p2align	8
	.type	_Z23fp32_router_gemm_kernelI14__hip_bfloat16Li128ELi18ELi256ELi3072EEvPfPKT_PKf,@function
_Z23fp32_router_gemm_kernelI14__hip_bfloat16Li128ELi18ELi256ELi3072EEvPfPKT_PKf: ; @_Z23fp32_router_gemm_kernelI14__hip_bfloat16Li128ELi18ELi256ELi3072EEvPfPKT_PKf
; %bb.0:
	s_load_dwordx4 s[0:3], s[4:5], 0x0
	s_load_dwordx2 s[8:9], s[4:5], 0x10
	s_mul_i32 s4, s6, 0xc00
	s_ashr_i32 s5, s4, 31
	s_lshl_b64 s[4:5], s[4:5], 2
	v_lshlrev_b32_e32 v10, 3, v0
	s_waitcnt lgkmcnt(0)
	s_add_u32 s4, s8, s4
	v_or_b32_e32 v1, 0x400, v10
	v_or_b32_e32 v12, 0x800, v10
	s_addc_u32 s5, s9, s5
	s_mov_b64 s[8:9], 0
	v_mov_b32_e32 v29, 0
	v_mov_b32_e32 v30, s3
	s_movk_i32 s7, 0x1000
	s_movk_i32 s10, 0x3000
	;; [unrolled: 1-line block ×5, first 2 shown]
	s_mov_b32 s14, 0x9000
	s_mov_b32 s15, 0xa000
	;; [unrolled: 1-line block ×12, first 2 shown]
	v_mov_b32_e32 v28, 0
	v_mov_b32_e32 v27, 0
	;; [unrolled: 1-line block ×17, first 2 shown]
.LBB49_1:                               ; =>This Inner Loop Header: Depth=1
	s_cmp_eq_u32 s8, 1
	s_cselect_b64 vcc, -1, 0
	s_cmp_eq_u32 s8, 2
	v_cndmask_b32_e32 v2, v10, v1, vcc
	s_cselect_b64 vcc, -1, 0
	v_cndmask_b32_e32 v2, v2, v12, vcc
	v_lshlrev_b32_e32 v33, 2, v2
	v_lshlrev_b32_e32 v38, 1, v2
	global_load_dwordx4 v[2:5], v33, s[4:5] offset:16
	global_load_dwordx4 v[6:9], v33, s[4:5]
	global_load_dwordx4 v[34:37], v38, s[2:3]
	v_add_co_u32_e32 v31, vcc, s2, v38
	v_addc_co_u32_e32 v32, vcc, 0, v30, vcc
	s_add_u32 s8, s8, 1
	s_addc_u32 s9, s9, 0
	s_cmp_eq_u32 s8, 3
	s_waitcnt vmcnt(0)
	v_and_b32_e32 v39, 0xffff0000, v34
	v_lshlrev_b32_e32 v38, 16, v34
	v_pk_mul_f32 v[38:39], v[6:7], v[38:39]
	v_add_f32_e32 v29, v38, v29
	v_add_f32_e32 v29, v39, v29
	v_and_b32_e32 v39, 0xffff0000, v35
	v_lshlrev_b32_e32 v38, 16, v35
	v_pk_mul_f32 v[34:35], v[8:9], v[38:39]
	v_add_f32_e32 v29, v34, v29
	v_add_f32_e32 v29, v35, v29
	v_and_b32_e32 v35, 0xffff0000, v36
	v_lshlrev_b32_e32 v34, 16, v36
	v_pk_mul_f32 v[34:35], v[2:3], v[34:35]
	v_add_f32_e32 v29, v34, v29
	v_add_f32_e32 v29, v35, v29
	v_and_b32_e32 v35, 0xffff0000, v37
	v_lshlrev_b32_e32 v34, 16, v37
	v_pk_mul_f32 v[34:35], v[4:5], v[34:35]
	v_add_f32_e32 v29, v34, v29
	v_add_co_u32_e32 v34, vcc, s7, v31
	v_add_f32_e32 v29, v35, v29
	v_addc_co_u32_e32 v35, vcc, 0, v32, vcc
	global_load_dwordx4 v[34:37], v[34:35], off offset:2048
	s_waitcnt vmcnt(0)
	v_and_b32_e32 v39, 0xffff0000, v34
	v_lshlrev_b32_e32 v38, 16, v34
	v_pk_mul_f32 v[38:39], v[6:7], v[38:39]
	v_add_f32_e32 v28, v38, v28
	v_add_f32_e32 v28, v39, v28
	v_and_b32_e32 v39, 0xffff0000, v35
	v_lshlrev_b32_e32 v38, 16, v35
	v_pk_mul_f32 v[34:35], v[8:9], v[38:39]
	v_add_f32_e32 v28, v34, v28
	v_add_f32_e32 v28, v35, v28
	v_and_b32_e32 v35, 0xffff0000, v36
	v_lshlrev_b32_e32 v34, 16, v36
	v_pk_mul_f32 v[34:35], v[2:3], v[34:35]
	v_add_f32_e32 v28, v34, v28
	v_add_f32_e32 v28, v35, v28
	v_and_b32_e32 v35, 0xffff0000, v37
	v_lshlrev_b32_e32 v34, 16, v37
	v_pk_mul_f32 v[34:35], v[4:5], v[34:35]
	v_add_f32_e32 v28, v34, v28
	v_add_co_u32_e32 v34, vcc, s10, v31
	v_add_f32_e32 v28, v35, v28
	v_addc_co_u32_e32 v35, vcc, 0, v32, vcc
	global_load_dwordx4 v[34:37], v[34:35], off
	s_waitcnt vmcnt(0)
	v_and_b32_e32 v39, 0xffff0000, v34
	v_lshlrev_b32_e32 v38, 16, v34
	v_pk_mul_f32 v[38:39], v[6:7], v[38:39]
	v_add_f32_e32 v27, v38, v27
	v_add_f32_e32 v27, v39, v27
	v_and_b32_e32 v39, 0xffff0000, v35
	v_lshlrev_b32_e32 v38, 16, v35
	v_pk_mul_f32 v[34:35], v[8:9], v[38:39]
	v_add_f32_e32 v27, v34, v27
	v_add_f32_e32 v27, v35, v27
	v_and_b32_e32 v35, 0xffff0000, v36
	v_lshlrev_b32_e32 v34, 16, v36
	v_pk_mul_f32 v[34:35], v[2:3], v[34:35]
	v_add_f32_e32 v27, v34, v27
	v_add_f32_e32 v27, v35, v27
	v_and_b32_e32 v35, 0xffff0000, v37
	v_lshlrev_b32_e32 v34, 16, v37
	v_pk_mul_f32 v[34:35], v[4:5], v[34:35]
	v_add_f32_e32 v27, v34, v27
	v_add_co_u32_e32 v34, vcc, s11, v31
	v_add_f32_e32 v27, v35, v27
	v_addc_co_u32_e32 v35, vcc, 0, v32, vcc
	global_load_dwordx4 v[34:37], v[34:35], off offset:2048
	s_waitcnt vmcnt(0)
	v_and_b32_e32 v39, 0xffff0000, v34
	v_lshlrev_b32_e32 v38, 16, v34
	v_pk_mul_f32 v[38:39], v[6:7], v[38:39]
	v_add_f32_e32 v26, v38, v26
	v_add_f32_e32 v26, v39, v26
	v_and_b32_e32 v39, 0xffff0000, v35
	v_lshlrev_b32_e32 v38, 16, v35
	v_pk_mul_f32 v[34:35], v[8:9], v[38:39]
	v_add_f32_e32 v26, v34, v26
	v_add_f32_e32 v26, v35, v26
	v_and_b32_e32 v35, 0xffff0000, v36
	v_lshlrev_b32_e32 v34, 16, v36
	v_pk_mul_f32 v[34:35], v[2:3], v[34:35]
	v_add_f32_e32 v26, v34, v26
	v_add_f32_e32 v26, v35, v26
	v_and_b32_e32 v35, 0xffff0000, v37
	v_lshlrev_b32_e32 v34, 16, v37
	v_pk_mul_f32 v[34:35], v[4:5], v[34:35]
	v_add_f32_e32 v26, v34, v26
	v_add_co_u32_e32 v34, vcc, s12, v31
	v_add_f32_e32 v26, v35, v26
	v_addc_co_u32_e32 v35, vcc, 0, v32, vcc
	global_load_dwordx4 v[34:37], v[34:35], off
	;; [unrolled: 48-line block ×8, first 2 shown]
	s_waitcnt vmcnt(0)
	v_and_b32_e32 v39, 0xffff0000, v34
	v_lshlrev_b32_e32 v38, 16, v34
	v_pk_mul_f32 v[38:39], v[6:7], v[38:39]
	v_add_f32_e32 v11, v38, v11
	v_add_f32_e32 v11, v39, v11
	v_and_b32_e32 v39, 0xffff0000, v35
	v_lshlrev_b32_e32 v38, 16, v35
	v_pk_mul_f32 v[34:35], v[8:9], v[38:39]
	v_add_f32_e32 v11, v34, v11
	v_add_f32_e32 v11, v35, v11
	;; [unrolled: 5-line block ×3, first 2 shown]
	v_and_b32_e32 v35, 0xffff0000, v37
	v_lshlrev_b32_e32 v34, 16, v37
	v_pk_mul_f32 v[34:35], v[4:5], v[34:35]
	v_add_f32_e32 v11, v34, v11
	v_add_co_u32_e32 v34, vcc, s25, v31
	v_add_f32_e32 v11, v35, v11
	v_addc_co_u32_e32 v35, vcc, 0, v32, vcc
	global_load_dwordx4 v[32:35], v[34:35], off offset:2048
	s_waitcnt vmcnt(0)
	v_and_b32_e32 v37, 0xffff0000, v32
	v_lshlrev_b32_e32 v36, 16, v32
	v_pk_mul_f32 v[6:7], v[6:7], v[36:37]
	v_add_f32_e32 v6, v6, v17
	v_add_f32_e32 v17, v7, v6
	v_and_b32_e32 v7, 0xffff0000, v33
	v_lshlrev_b32_e32 v6, 16, v33
	v_pk_mul_f32 v[6:7], v[8:9], v[6:7]
	v_add_f32_e32 v6, v6, v17
	v_add_f32_e32 v8, v7, v6
	;; [unrolled: 5-line block ×4, first 2 shown]
	s_cbranch_scc0 .LBB49_1
; %bb.2:
	v_mbcnt_lo_u32_b32 v1, -1, 0
	v_mbcnt_hi_u32_b32 v5, -1, v1
	v_and_b32_e32 v2, 64, v5
	v_xor_b32_e32 v1, 16, v5
	v_add_u32_e32 v6, 64, v2
	v_cmp_lt_i32_e32 vcc, v1, v6
	v_cndmask_b32_e32 v1, v5, v1, vcc
	v_lshlrev_b32_e32 v1, 2, v1
	ds_bpermute_b32 v3, v1, v29
	v_xor_b32_e32 v2, 8, v5
	v_cmp_lt_i32_e32 vcc, v2, v6
	v_cndmask_b32_e32 v2, v5, v2, vcc
	v_lshlrev_b32_e32 v2, 2, v2
	s_waitcnt lgkmcnt(0)
	v_add_f32_e32 v4, v29, v3
	ds_bpermute_b32 v7, v2, v4
	v_xor_b32_e32 v3, 4, v5
	v_cmp_lt_i32_e32 vcc, v3, v6
	v_cndmask_b32_e32 v3, v5, v3, vcc
	v_lshlrev_b32_e32 v3, 2, v3
	s_waitcnt lgkmcnt(0)
	v_add_f32_e32 v7, v4, v7
	;; [unrolled: 7-line block ×4, first 2 shown]
	ds_bpermute_b32 v8, v6, v7
	v_lshrrev_b32_e32 v5, 5, v0
	v_and_b32_e32 v9, 31, v0
	v_cmp_eq_u32_e32 vcc, 0, v9
	v_lshlrev_b32_e32 v5, 2, v5
	s_and_saveexec_b64 s[2:3], vcc
	s_cbranch_execz .LBB49_4
; %bb.3:
	s_waitcnt lgkmcnt(0)
	v_add_f32_e32 v7, v7, v8
	ds_write_b32 v5, v7
.LBB49_4:
	s_or_b64 exec, exec, s[2:3]
	ds_bpermute_b32 v7, v1, v28
	s_waitcnt lgkmcnt(0)
	v_add_f32_e32 v7, v28, v7
	ds_bpermute_b32 v8, v2, v7
	s_waitcnt lgkmcnt(0)
	v_add_f32_e32 v7, v7, v8
	ds_bpermute_b32 v8, v3, v7
	s_waitcnt lgkmcnt(0)
	v_add_f32_e32 v7, v7, v8
	ds_bpermute_b32 v8, v4, v7
	s_waitcnt lgkmcnt(0)
	v_add_f32_e32 v7, v7, v8
	ds_bpermute_b32 v8, v6, v7
	s_and_saveexec_b64 s[2:3], vcc
	s_cbranch_execz .LBB49_6
; %bb.5:
	s_waitcnt lgkmcnt(0)
	v_add_f32_e32 v7, v7, v8
	ds_write_b32 v5, v7 offset:16
.LBB49_6:
	s_or_b64 exec, exec, s[2:3]
	ds_bpermute_b32 v7, v1, v27
	s_waitcnt lgkmcnt(0)
	v_add_f32_e32 v7, v27, v7
	ds_bpermute_b32 v8, v2, v7
	s_waitcnt lgkmcnt(0)
	v_add_f32_e32 v7, v7, v8
	ds_bpermute_b32 v8, v3, v7
	s_waitcnt lgkmcnt(0)
	v_add_f32_e32 v7, v7, v8
	ds_bpermute_b32 v8, v4, v7
	s_waitcnt lgkmcnt(0)
	v_add_f32_e32 v7, v7, v8
	ds_bpermute_b32 v8, v6, v7
	s_and_saveexec_b64 s[2:3], vcc
	s_cbranch_execz .LBB49_8
; %bb.7:
	s_waitcnt lgkmcnt(0)
	v_add_f32_e32 v7, v7, v8
	ds_write_b32 v5, v7 offset:32
.LBB49_8:
	;; [unrolled: 21-line block ×17, first 2 shown]
	s_or_b64 exec, exec, s[2:3]
	v_cmp_eq_u32_e32 vcc, 0, v0
	s_waitcnt lgkmcnt(0)
	s_barrier
	s_and_saveexec_b64 s[2:3], vcc
	s_cbranch_execz .LBB49_40
; %bb.39:
	v_mov_b32_e32 v16, 0
	ds_read_b128 v[0:3], v16
	s_ashr_i32 s7, s6, 31
	ds_read_b128 v[4:7], v16 offset:16
	ds_read_b128 v[8:11], v16 offset:32
	;; [unrolled: 1-line block ×3, first 2 shown]
	s_lshl_b64 s[2:3], s[6:7], 2
	s_add_u32 s0, s0, s2
	s_waitcnt lgkmcnt(3)
	v_add_f32_e32 v0, 0, v0
	v_add_f32_e32 v0, v0, v1
	v_add_f32_e32 v0, v0, v2
	v_add_f32_e32 v0, v0, v3
	s_addc_u32 s1, s1, s3
	global_store_dword v16, v0, s[0:1]
	s_waitcnt lgkmcnt(2)
	v_add_f32_e32 v0, 0, v4
	v_add_f32_e32 v0, v0, v5
	;; [unrolled: 1-line block ×4, first 2 shown]
	global_store_dword v16, v0, s[0:1] offset:1024
	s_waitcnt lgkmcnt(1)
	v_add_f32_e32 v0, 0, v8
	v_add_f32_e32 v0, v0, v9
	;; [unrolled: 1-line block ×4, first 2 shown]
	global_store_dword v16, v0, s[0:1] offset:2048
	s_waitcnt lgkmcnt(0)
	v_add_f32_e32 v0, 0, v12
	v_add_f32_e32 v4, v0, v13
	ds_read_b128 v[0:3], v16 offset:64
	v_add_f32_e32 v4, v4, v14
	v_add_f32_e32 v4, v4, v15
	global_store_dword v16, v4, s[0:1] offset:3072
	ds_read_b128 v[4:7], v16 offset:80
	s_waitcnt lgkmcnt(1)
	v_add_f32_e32 v0, 0, v0
	v_add_f32_e32 v0, v0, v1
	;; [unrolled: 1-line block ×4, first 2 shown]
	v_mov_b32_e32 v8, 0x1000
	global_store_dword v8, v0, s[0:1]
	s_waitcnt lgkmcnt(0)
	v_add_f32_e32 v0, 0, v4
	v_add_f32_e32 v4, v0, v5
	ds_read_b128 v[0:3], v16 offset:96
	v_add_f32_e32 v4, v4, v6
	v_add_f32_e32 v4, v4, v7
	global_store_dword v8, v4, s[0:1] offset:1024
	ds_read_b128 v[4:7], v16 offset:112
	s_waitcnt lgkmcnt(1)
	v_add_f32_e32 v0, 0, v0
	v_add_f32_e32 v0, v0, v1
	;; [unrolled: 1-line block ×4, first 2 shown]
	global_store_dword v8, v0, s[0:1] offset:2048
	s_waitcnt lgkmcnt(0)
	v_add_f32_e32 v0, 0, v4
	v_add_f32_e32 v4, v0, v5
	ds_read_b128 v[0:3], v16 offset:128
	v_add_f32_e32 v4, v4, v6
	v_add_f32_e32 v4, v4, v7
	global_store_dword v8, v4, s[0:1] offset:3072
	ds_read_b128 v[4:7], v16 offset:144
	s_waitcnt lgkmcnt(1)
	v_add_f32_e32 v0, 0, v0
	v_add_f32_e32 v0, v0, v1
	v_add_f32_e32 v0, v0, v2
	v_add_f32_e32 v0, v0, v3
	v_mov_b32_e32 v12, 0x2000
	global_store_dword v12, v0, s[0:1]
	ds_read_b128 v[0:3], v16 offset:160
	ds_read_b128 v[8:11], v16 offset:176
	s_waitcnt lgkmcnt(2)
	v_add_f32_e32 v4, 0, v4
	v_add_f32_e32 v4, v4, v5
	;; [unrolled: 1-line block ×3, first 2 shown]
	s_waitcnt lgkmcnt(1)
	v_add_f32_e32 v0, 0, v0
	v_add_f32_e32 v0, v0, v1
	;; [unrolled: 1-line block ×5, first 2 shown]
	global_store_dword v12, v0, s[0:1] offset:2048
	s_waitcnt lgkmcnt(0)
	v_add_f32_e32 v0, 0, v8
	global_store_dword v12, v4, s[0:1] offset:1024
	v_add_f32_e32 v4, v0, v9
	ds_read_b128 v[0:3], v16 offset:192
	v_add_f32_e32 v4, v4, v10
	v_add_f32_e32 v4, v4, v11
	global_store_dword v12, v4, s[0:1] offset:3072
	ds_read_b128 v[4:7], v16 offset:208
	s_waitcnt lgkmcnt(1)
	v_add_f32_e32 v0, 0, v0
	v_add_f32_e32 v0, v0, v1
	;; [unrolled: 1-line block ×4, first 2 shown]
	v_mov_b32_e32 v8, 0x3000
	global_store_dword v8, v0, s[0:1]
	s_waitcnt lgkmcnt(0)
	v_add_f32_e32 v0, 0, v4
	v_add_f32_e32 v4, v0, v5
	ds_read_b128 v[0:3], v16 offset:224
	v_add_f32_e32 v4, v4, v6
	v_add_f32_e32 v4, v4, v7
	global_store_dword v8, v4, s[0:1] offset:1024
	ds_read_b128 v[4:7], v16 offset:240
	s_waitcnt lgkmcnt(1)
	v_add_f32_e32 v0, 0, v0
	v_add_f32_e32 v0, v0, v1
	;; [unrolled: 1-line block ×4, first 2 shown]
	global_store_dword v8, v0, s[0:1] offset:2048
	s_waitcnt lgkmcnt(0)
	v_add_f32_e32 v0, 0, v4
	v_add_f32_e32 v4, v0, v5
	ds_read_b128 v[0:3], v16 offset:256
	v_add_f32_e32 v4, v4, v6
	v_add_f32_e32 v4, v4, v7
	global_store_dword v8, v4, s[0:1] offset:3072
	ds_read_b128 v[4:7], v16 offset:272
	s_waitcnt lgkmcnt(1)
	v_add_f32_e32 v0, 0, v0
	v_add_f32_e32 v0, v0, v1
	;; [unrolled: 1-line block ×4, first 2 shown]
	v_mov_b32_e32 v1, 0x4000
	global_store_dword v1, v0, s[0:1]
	s_waitcnt lgkmcnt(0)
	v_add_f32_e32 v0, 0, v4
	v_add_f32_e32 v0, v0, v5
	;; [unrolled: 1-line block ×4, first 2 shown]
	global_store_dword v1, v0, s[0:1] offset:1024
.LBB49_40:
	s_endpgm
	.section	.rodata,"a",@progbits
	.p2align	6, 0x0
	.amdhsa_kernel _Z23fp32_router_gemm_kernelI14__hip_bfloat16Li128ELi18ELi256ELi3072EEvPfPKT_PKf
		.amdhsa_group_segment_fixed_size 288
		.amdhsa_private_segment_fixed_size 0
		.amdhsa_kernarg_size 24
		.amdhsa_user_sgpr_count 6
		.amdhsa_user_sgpr_private_segment_buffer 1
		.amdhsa_user_sgpr_dispatch_ptr 0
		.amdhsa_user_sgpr_queue_ptr 0
		.amdhsa_user_sgpr_kernarg_segment_ptr 1
		.amdhsa_user_sgpr_dispatch_id 0
		.amdhsa_user_sgpr_flat_scratch_init 0
		.amdhsa_user_sgpr_kernarg_preload_length 0
		.amdhsa_user_sgpr_kernarg_preload_offset 0
		.amdhsa_user_sgpr_private_segment_size 0
		.amdhsa_uses_dynamic_stack 0
		.amdhsa_system_sgpr_private_segment_wavefront_offset 0
		.amdhsa_system_sgpr_workgroup_id_x 1
		.amdhsa_system_sgpr_workgroup_id_y 0
		.amdhsa_system_sgpr_workgroup_id_z 0
		.amdhsa_system_sgpr_workgroup_info 0
		.amdhsa_system_vgpr_workitem_id 0
		.amdhsa_next_free_vgpr 40
		.amdhsa_next_free_sgpr 26
		.amdhsa_accum_offset 40
		.amdhsa_reserve_vcc 1
		.amdhsa_reserve_flat_scratch 0
		.amdhsa_float_round_mode_32 0
		.amdhsa_float_round_mode_16_64 0
		.amdhsa_float_denorm_mode_32 3
		.amdhsa_float_denorm_mode_16_64 3
		.amdhsa_dx10_clamp 1
		.amdhsa_ieee_mode 1
		.amdhsa_fp16_overflow 0
		.amdhsa_tg_split 0
		.amdhsa_exception_fp_ieee_invalid_op 0
		.amdhsa_exception_fp_denorm_src 0
		.amdhsa_exception_fp_ieee_div_zero 0
		.amdhsa_exception_fp_ieee_overflow 0
		.amdhsa_exception_fp_ieee_underflow 0
		.amdhsa_exception_fp_ieee_inexact 0
		.amdhsa_exception_int_div_zero 0
	.end_amdhsa_kernel
	.section	.text._Z23fp32_router_gemm_kernelI14__hip_bfloat16Li128ELi18ELi256ELi3072EEvPfPKT_PKf,"axG",@progbits,_Z23fp32_router_gemm_kernelI14__hip_bfloat16Li128ELi18ELi256ELi3072EEvPfPKT_PKf,comdat
.Lfunc_end49:
	.size	_Z23fp32_router_gemm_kernelI14__hip_bfloat16Li128ELi18ELi256ELi3072EEvPfPKT_PKf, .Lfunc_end49-_Z23fp32_router_gemm_kernelI14__hip_bfloat16Li128ELi18ELi256ELi3072EEvPfPKT_PKf
                                        ; -- End function
	.section	.AMDGPU.csdata,"",@progbits
; Kernel info:
; codeLenInByte = 5344
; NumSgprs: 30
; NumVgprs: 40
; NumAgprs: 0
; TotalNumVgprs: 40
; ScratchSize: 0
; MemoryBound: 0
; FloatMode: 240
; IeeeMode: 1
; LDSByteSize: 288 bytes/workgroup (compile time only)
; SGPRBlocks: 3
; VGPRBlocks: 4
; NumSGPRsForWavesPerEU: 30
; NumVGPRsForWavesPerEU: 40
; AccumOffset: 40
; Occupancy: 8
; WaveLimiterHint : 1
; COMPUTE_PGM_RSRC2:SCRATCH_EN: 0
; COMPUTE_PGM_RSRC2:USER_SGPR: 6
; COMPUTE_PGM_RSRC2:TRAP_HANDLER: 0
; COMPUTE_PGM_RSRC2:TGID_X_EN: 1
; COMPUTE_PGM_RSRC2:TGID_Y_EN: 0
; COMPUTE_PGM_RSRC2:TGID_Z_EN: 0
; COMPUTE_PGM_RSRC2:TIDIG_COMP_CNT: 0
; COMPUTE_PGM_RSRC3_GFX90A:ACCUM_OFFSET: 9
; COMPUTE_PGM_RSRC3_GFX90A:TG_SPLIT: 0
	.section	.text._Z23fp32_router_gemm_kernelI14__hip_bfloat16Li128ELi19ELi256ELi3072EEvPfPKT_PKf,"axG",@progbits,_Z23fp32_router_gemm_kernelI14__hip_bfloat16Li128ELi19ELi256ELi3072EEvPfPKT_PKf,comdat
	.protected	_Z23fp32_router_gemm_kernelI14__hip_bfloat16Li128ELi19ELi256ELi3072EEvPfPKT_PKf ; -- Begin function _Z23fp32_router_gemm_kernelI14__hip_bfloat16Li128ELi19ELi256ELi3072EEvPfPKT_PKf
	.globl	_Z23fp32_router_gemm_kernelI14__hip_bfloat16Li128ELi19ELi256ELi3072EEvPfPKT_PKf
	.p2align	8
	.type	_Z23fp32_router_gemm_kernelI14__hip_bfloat16Li128ELi19ELi256ELi3072EEvPfPKT_PKf,@function
_Z23fp32_router_gemm_kernelI14__hip_bfloat16Li128ELi19ELi256ELi3072EEvPfPKT_PKf: ; @_Z23fp32_router_gemm_kernelI14__hip_bfloat16Li128ELi19ELi256ELi3072EEvPfPKT_PKf
; %bb.0:
	s_load_dwordx4 s[0:3], s[4:5], 0x0
	s_load_dwordx2 s[8:9], s[4:5], 0x10
	s_mul_i32 s4, s6, 0xc00
	s_ashr_i32 s5, s4, 31
	s_lshl_b64 s[4:5], s[4:5], 2
	v_lshlrev_b32_e32 v10, 3, v0
	s_waitcnt lgkmcnt(0)
	s_add_u32 s4, s8, s4
	v_or_b32_e32 v1, 0x400, v10
	v_or_b32_e32 v12, 0x800, v10
	s_addc_u32 s5, s9, s5
	s_mov_b64 s[8:9], 0
	v_mov_b32_e32 v30, 0
	v_mov_b32_e32 v31, s3
	s_movk_i32 s7, 0x1000
	s_movk_i32 s10, 0x3000
	;; [unrolled: 1-line block ×5, first 2 shown]
	s_mov_b32 s14, 0x9000
	s_mov_b32 s15, 0xa000
	;; [unrolled: 1-line block ×13, first 2 shown]
	v_mov_b32_e32 v29, 0
	v_mov_b32_e32 v28, 0
	v_mov_b32_e32 v27, 0
	v_mov_b32_e32 v26, 0
	v_mov_b32_e32 v25, 0
	v_mov_b32_e32 v24, 0
	v_mov_b32_e32 v23, 0
	v_mov_b32_e32 v22, 0
	v_mov_b32_e32 v21, 0
	v_mov_b32_e32 v20, 0
	v_mov_b32_e32 v19, 0
	v_mov_b32_e32 v18, 0
	v_mov_b32_e32 v17, 0
	v_mov_b32_e32 v15, 0
	v_mov_b32_e32 v14, 0
	v_mov_b32_e32 v13, 0
	v_mov_b32_e32 v11, 0
	v_mov_b32_e32 v16, 0
.LBB50_1:                               ; =>This Inner Loop Header: Depth=1
	s_cmp_eq_u32 s8, 1
	s_cselect_b64 vcc, -1, 0
	s_cmp_eq_u32 s8, 2
	v_cndmask_b32_e32 v2, v10, v1, vcc
	s_cselect_b64 vcc, -1, 0
	v_cndmask_b32_e32 v2, v2, v12, vcc
	v_lshlrev_b32_e32 v38, 2, v2
	v_lshlrev_b32_e32 v39, 1, v2
	global_load_dwordx4 v[2:5], v38, s[4:5] offset:16
	global_load_dwordx4 v[6:9], v38, s[4:5]
	global_load_dwordx4 v[34:37], v39, s[2:3]
	v_add_co_u32_e32 v32, vcc, s2, v39
	v_addc_co_u32_e32 v33, vcc, 0, v31, vcc
	s_add_u32 s8, s8, 1
	s_addc_u32 s9, s9, 0
	s_cmp_eq_u32 s8, 3
	s_waitcnt vmcnt(0)
	v_and_b32_e32 v39, 0xffff0000, v34
	v_lshlrev_b32_e32 v38, 16, v34
	v_pk_mul_f32 v[38:39], v[6:7], v[38:39]
	v_add_f32_e32 v30, v38, v30
	v_add_f32_e32 v30, v39, v30
	v_and_b32_e32 v39, 0xffff0000, v35
	v_lshlrev_b32_e32 v38, 16, v35
	v_pk_mul_f32 v[34:35], v[8:9], v[38:39]
	v_add_f32_e32 v30, v34, v30
	v_add_f32_e32 v30, v35, v30
	v_and_b32_e32 v35, 0xffff0000, v36
	v_lshlrev_b32_e32 v34, 16, v36
	v_pk_mul_f32 v[34:35], v[2:3], v[34:35]
	v_add_f32_e32 v30, v34, v30
	v_add_f32_e32 v30, v35, v30
	v_and_b32_e32 v35, 0xffff0000, v37
	v_lshlrev_b32_e32 v34, 16, v37
	v_pk_mul_f32 v[34:35], v[4:5], v[34:35]
	v_add_f32_e32 v30, v34, v30
	v_add_co_u32_e32 v34, vcc, s7, v32
	v_add_f32_e32 v30, v35, v30
	v_addc_co_u32_e32 v35, vcc, 0, v33, vcc
	global_load_dwordx4 v[34:37], v[34:35], off offset:2048
	s_waitcnt vmcnt(0)
	v_and_b32_e32 v39, 0xffff0000, v34
	v_lshlrev_b32_e32 v38, 16, v34
	v_pk_mul_f32 v[38:39], v[6:7], v[38:39]
	v_add_f32_e32 v29, v38, v29
	v_add_f32_e32 v29, v39, v29
	v_and_b32_e32 v39, 0xffff0000, v35
	v_lshlrev_b32_e32 v38, 16, v35
	v_pk_mul_f32 v[34:35], v[8:9], v[38:39]
	v_add_f32_e32 v29, v34, v29
	v_add_f32_e32 v29, v35, v29
	v_and_b32_e32 v35, 0xffff0000, v36
	v_lshlrev_b32_e32 v34, 16, v36
	v_pk_mul_f32 v[34:35], v[2:3], v[34:35]
	v_add_f32_e32 v29, v34, v29
	v_add_f32_e32 v29, v35, v29
	v_and_b32_e32 v35, 0xffff0000, v37
	v_lshlrev_b32_e32 v34, 16, v37
	v_pk_mul_f32 v[34:35], v[4:5], v[34:35]
	v_add_f32_e32 v29, v34, v29
	v_add_co_u32_e32 v34, vcc, s10, v32
	v_add_f32_e32 v29, v35, v29
	v_addc_co_u32_e32 v35, vcc, 0, v33, vcc
	global_load_dwordx4 v[34:37], v[34:35], off
	s_waitcnt vmcnt(0)
	v_and_b32_e32 v39, 0xffff0000, v34
	v_lshlrev_b32_e32 v38, 16, v34
	v_pk_mul_f32 v[38:39], v[6:7], v[38:39]
	v_add_f32_e32 v28, v38, v28
	v_add_f32_e32 v28, v39, v28
	v_and_b32_e32 v39, 0xffff0000, v35
	v_lshlrev_b32_e32 v38, 16, v35
	v_pk_mul_f32 v[34:35], v[8:9], v[38:39]
	v_add_f32_e32 v28, v34, v28
	v_add_f32_e32 v28, v35, v28
	v_and_b32_e32 v35, 0xffff0000, v36
	v_lshlrev_b32_e32 v34, 16, v36
	v_pk_mul_f32 v[34:35], v[2:3], v[34:35]
	v_add_f32_e32 v28, v34, v28
	v_add_f32_e32 v28, v35, v28
	v_and_b32_e32 v35, 0xffff0000, v37
	v_lshlrev_b32_e32 v34, 16, v37
	v_pk_mul_f32 v[34:35], v[4:5], v[34:35]
	v_add_f32_e32 v28, v34, v28
	v_add_co_u32_e32 v34, vcc, s11, v32
	v_add_f32_e32 v28, v35, v28
	v_addc_co_u32_e32 v35, vcc, 0, v33, vcc
	global_load_dwordx4 v[34:37], v[34:35], off offset:2048
	s_waitcnt vmcnt(0)
	v_and_b32_e32 v39, 0xffff0000, v34
	v_lshlrev_b32_e32 v38, 16, v34
	v_pk_mul_f32 v[38:39], v[6:7], v[38:39]
	v_add_f32_e32 v27, v38, v27
	v_add_f32_e32 v27, v39, v27
	v_and_b32_e32 v39, 0xffff0000, v35
	v_lshlrev_b32_e32 v38, 16, v35
	v_pk_mul_f32 v[34:35], v[8:9], v[38:39]
	v_add_f32_e32 v27, v34, v27
	v_add_f32_e32 v27, v35, v27
	v_and_b32_e32 v35, 0xffff0000, v36
	v_lshlrev_b32_e32 v34, 16, v36
	v_pk_mul_f32 v[34:35], v[2:3], v[34:35]
	v_add_f32_e32 v27, v34, v27
	v_add_f32_e32 v27, v35, v27
	v_and_b32_e32 v35, 0xffff0000, v37
	v_lshlrev_b32_e32 v34, 16, v37
	v_pk_mul_f32 v[34:35], v[4:5], v[34:35]
	v_add_f32_e32 v27, v34, v27
	v_add_co_u32_e32 v34, vcc, s12, v32
	v_add_f32_e32 v27, v35, v27
	v_addc_co_u32_e32 v35, vcc, 0, v33, vcc
	global_load_dwordx4 v[34:37], v[34:35], off
	;; [unrolled: 48-line block ×8, first 2 shown]
	s_waitcnt vmcnt(0)
	v_and_b32_e32 v39, 0xffff0000, v34
	v_lshlrev_b32_e32 v38, 16, v34
	v_pk_mul_f32 v[38:39], v[6:7], v[38:39]
	v_add_f32_e32 v13, v38, v13
	v_add_f32_e32 v13, v39, v13
	v_and_b32_e32 v39, 0xffff0000, v35
	v_lshlrev_b32_e32 v38, 16, v35
	v_pk_mul_f32 v[34:35], v[8:9], v[38:39]
	v_add_f32_e32 v13, v34, v13
	v_add_f32_e32 v13, v35, v13
	;; [unrolled: 5-line block ×3, first 2 shown]
	v_and_b32_e32 v35, 0xffff0000, v37
	v_lshlrev_b32_e32 v34, 16, v37
	v_pk_mul_f32 v[34:35], v[4:5], v[34:35]
	v_add_f32_e32 v13, v34, v13
	v_add_co_u32_e32 v34, vcc, s25, v32
	v_add_f32_e32 v13, v35, v13
	v_addc_co_u32_e32 v35, vcc, 0, v33, vcc
	global_load_dwordx4 v[34:37], v[34:35], off offset:2048
	v_add_co_u32_e32 v32, vcc, s26, v32
	v_addc_co_u32_e32 v33, vcc, 0, v33, vcc
	s_waitcnt vmcnt(0)
	v_and_b32_e32 v39, 0xffff0000, v34
	v_lshlrev_b32_e32 v38, 16, v34
	v_pk_mul_f32 v[38:39], v[6:7], v[38:39]
	v_add_f32_e32 v11, v38, v11
	v_add_f32_e32 v11, v39, v11
	v_and_b32_e32 v39, 0xffff0000, v35
	v_lshlrev_b32_e32 v38, 16, v35
	v_pk_mul_f32 v[34:35], v[8:9], v[38:39]
	v_add_f32_e32 v11, v34, v11
	v_add_f32_e32 v11, v35, v11
	;; [unrolled: 5-line block ×4, first 2 shown]
	global_load_dwordx4 v[32:35], v[32:33], off
	s_waitcnt vmcnt(0)
	v_and_b32_e32 v37, 0xffff0000, v32
	v_lshlrev_b32_e32 v36, 16, v32
	v_pk_mul_f32 v[6:7], v[6:7], v[36:37]
	v_add_f32_e32 v6, v6, v16
	v_add_f32_e32 v16, v7, v6
	v_and_b32_e32 v7, 0xffff0000, v33
	v_lshlrev_b32_e32 v6, 16, v33
	v_pk_mul_f32 v[6:7], v[8:9], v[6:7]
	v_add_f32_e32 v6, v6, v16
	v_add_f32_e32 v8, v7, v6
	;; [unrolled: 5-line block ×4, first 2 shown]
	s_cbranch_scc0 .LBB50_1
; %bb.2:
	v_mbcnt_lo_u32_b32 v1, -1, 0
	v_mbcnt_hi_u32_b32 v5, -1, v1
	v_and_b32_e32 v2, 64, v5
	v_xor_b32_e32 v1, 16, v5
	v_add_u32_e32 v6, 64, v2
	v_cmp_lt_i32_e32 vcc, v1, v6
	v_cndmask_b32_e32 v1, v5, v1, vcc
	v_lshlrev_b32_e32 v1, 2, v1
	ds_bpermute_b32 v3, v1, v30
	v_xor_b32_e32 v2, 8, v5
	v_cmp_lt_i32_e32 vcc, v2, v6
	v_cndmask_b32_e32 v2, v5, v2, vcc
	v_lshlrev_b32_e32 v2, 2, v2
	s_waitcnt lgkmcnt(0)
	v_add_f32_e32 v4, v30, v3
	ds_bpermute_b32 v7, v2, v4
	v_xor_b32_e32 v3, 4, v5
	v_cmp_lt_i32_e32 vcc, v3, v6
	v_cndmask_b32_e32 v3, v5, v3, vcc
	v_lshlrev_b32_e32 v3, 2, v3
	s_waitcnt lgkmcnt(0)
	v_add_f32_e32 v7, v4, v7
	;; [unrolled: 7-line block ×4, first 2 shown]
	ds_bpermute_b32 v8, v6, v7
	v_lshrrev_b32_e32 v5, 5, v0
	v_and_b32_e32 v9, 31, v0
	v_cmp_eq_u32_e32 vcc, 0, v9
	v_lshlrev_b32_e32 v5, 2, v5
	s_and_saveexec_b64 s[2:3], vcc
	s_cbranch_execz .LBB50_4
; %bb.3:
	s_waitcnt lgkmcnt(0)
	v_add_f32_e32 v7, v7, v8
	ds_write_b32 v5, v7
.LBB50_4:
	s_or_b64 exec, exec, s[2:3]
	ds_bpermute_b32 v7, v1, v29
	s_waitcnt lgkmcnt(0)
	v_add_f32_e32 v7, v29, v7
	ds_bpermute_b32 v8, v2, v7
	s_waitcnt lgkmcnt(0)
	v_add_f32_e32 v7, v7, v8
	ds_bpermute_b32 v8, v3, v7
	s_waitcnt lgkmcnt(0)
	v_add_f32_e32 v7, v7, v8
	ds_bpermute_b32 v8, v4, v7
	s_waitcnt lgkmcnt(0)
	v_add_f32_e32 v7, v7, v8
	ds_bpermute_b32 v8, v6, v7
	s_and_saveexec_b64 s[2:3], vcc
	s_cbranch_execz .LBB50_6
; %bb.5:
	s_waitcnt lgkmcnt(0)
	v_add_f32_e32 v7, v7, v8
	ds_write_b32 v5, v7 offset:16
.LBB50_6:
	s_or_b64 exec, exec, s[2:3]
	ds_bpermute_b32 v7, v1, v28
	s_waitcnt lgkmcnt(0)
	v_add_f32_e32 v7, v28, v7
	ds_bpermute_b32 v8, v2, v7
	s_waitcnt lgkmcnt(0)
	v_add_f32_e32 v7, v7, v8
	ds_bpermute_b32 v8, v3, v7
	s_waitcnt lgkmcnt(0)
	v_add_f32_e32 v7, v7, v8
	ds_bpermute_b32 v8, v4, v7
	s_waitcnt lgkmcnt(0)
	v_add_f32_e32 v7, v7, v8
	ds_bpermute_b32 v8, v6, v7
	s_and_saveexec_b64 s[2:3], vcc
	s_cbranch_execz .LBB50_8
; %bb.7:
	s_waitcnt lgkmcnt(0)
	v_add_f32_e32 v7, v7, v8
	ds_write_b32 v5, v7 offset:32
.LBB50_8:
	;; [unrolled: 21-line block ×18, first 2 shown]
	s_or_b64 exec, exec, s[2:3]
	v_cmp_eq_u32_e32 vcc, 0, v0
	s_waitcnt lgkmcnt(0)
	s_barrier
	s_and_saveexec_b64 s[2:3], vcc
	s_cbranch_execz .LBB50_42
; %bb.41:
	v_mov_b32_e32 v16, 0
	ds_read_b128 v[0:3], v16
	s_ashr_i32 s7, s6, 31
	ds_read_b128 v[4:7], v16 offset:16
	ds_read_b128 v[8:11], v16 offset:32
	;; [unrolled: 1-line block ×3, first 2 shown]
	s_lshl_b64 s[2:3], s[6:7], 2
	s_add_u32 s0, s0, s2
	s_waitcnt lgkmcnt(3)
	v_add_f32_e32 v0, 0, v0
	v_add_f32_e32 v0, v0, v1
	;; [unrolled: 1-line block ×4, first 2 shown]
	s_addc_u32 s1, s1, s3
	global_store_dword v16, v0, s[0:1]
	s_waitcnt lgkmcnt(2)
	v_add_f32_e32 v0, 0, v4
	v_add_f32_e32 v0, v0, v5
	;; [unrolled: 1-line block ×4, first 2 shown]
	global_store_dword v16, v0, s[0:1] offset:1024
	s_waitcnt lgkmcnt(1)
	v_add_f32_e32 v0, 0, v8
	v_add_f32_e32 v0, v0, v9
	;; [unrolled: 1-line block ×4, first 2 shown]
	global_store_dword v16, v0, s[0:1] offset:2048
	s_waitcnt lgkmcnt(0)
	v_add_f32_e32 v0, 0, v12
	v_add_f32_e32 v4, v0, v13
	ds_read_b128 v[0:3], v16 offset:64
	v_add_f32_e32 v4, v4, v14
	v_add_f32_e32 v4, v4, v15
	global_store_dword v16, v4, s[0:1] offset:3072
	ds_read_b128 v[4:7], v16 offset:80
	s_waitcnt lgkmcnt(1)
	v_add_f32_e32 v0, 0, v0
	v_add_f32_e32 v0, v0, v1
	;; [unrolled: 1-line block ×4, first 2 shown]
	v_mov_b32_e32 v8, 0x1000
	global_store_dword v8, v0, s[0:1]
	s_waitcnt lgkmcnt(0)
	v_add_f32_e32 v0, 0, v4
	v_add_f32_e32 v4, v0, v5
	ds_read_b128 v[0:3], v16 offset:96
	v_add_f32_e32 v4, v4, v6
	v_add_f32_e32 v4, v4, v7
	global_store_dword v8, v4, s[0:1] offset:1024
	ds_read_b128 v[4:7], v16 offset:112
	s_waitcnt lgkmcnt(1)
	v_add_f32_e32 v0, 0, v0
	v_add_f32_e32 v0, v0, v1
	;; [unrolled: 1-line block ×4, first 2 shown]
	global_store_dword v8, v0, s[0:1] offset:2048
	s_waitcnt lgkmcnt(0)
	v_add_f32_e32 v0, 0, v4
	v_add_f32_e32 v4, v0, v5
	ds_read_b128 v[0:3], v16 offset:128
	v_add_f32_e32 v4, v4, v6
	v_add_f32_e32 v4, v4, v7
	global_store_dword v8, v4, s[0:1] offset:3072
	ds_read_b128 v[4:7], v16 offset:144
	s_waitcnt lgkmcnt(1)
	v_add_f32_e32 v0, 0, v0
	v_add_f32_e32 v0, v0, v1
	;; [unrolled: 1-line block ×4, first 2 shown]
	v_mov_b32_e32 v12, 0x2000
	global_store_dword v12, v0, s[0:1]
	ds_read_b128 v[0:3], v16 offset:160
	ds_read_b128 v[8:11], v16 offset:176
	s_waitcnt lgkmcnt(2)
	v_add_f32_e32 v4, 0, v4
	v_add_f32_e32 v4, v4, v5
	;; [unrolled: 1-line block ×3, first 2 shown]
	s_waitcnt lgkmcnt(1)
	v_add_f32_e32 v0, 0, v0
	v_add_f32_e32 v0, v0, v1
	;; [unrolled: 1-line block ×5, first 2 shown]
	global_store_dword v12, v0, s[0:1] offset:2048
	s_waitcnt lgkmcnt(0)
	v_add_f32_e32 v0, 0, v8
	global_store_dword v12, v4, s[0:1] offset:1024
	v_add_f32_e32 v4, v0, v9
	ds_read_b128 v[0:3], v16 offset:192
	v_add_f32_e32 v4, v4, v10
	v_add_f32_e32 v4, v4, v11
	global_store_dword v12, v4, s[0:1] offset:3072
	ds_read_b128 v[4:7], v16 offset:208
	s_waitcnt lgkmcnt(1)
	v_add_f32_e32 v0, 0, v0
	v_add_f32_e32 v0, v0, v1
	;; [unrolled: 1-line block ×4, first 2 shown]
	v_mov_b32_e32 v8, 0x3000
	global_store_dword v8, v0, s[0:1]
	s_waitcnt lgkmcnt(0)
	v_add_f32_e32 v0, 0, v4
	v_add_f32_e32 v4, v0, v5
	ds_read_b128 v[0:3], v16 offset:224
	v_add_f32_e32 v4, v4, v6
	v_add_f32_e32 v4, v4, v7
	global_store_dword v8, v4, s[0:1] offset:1024
	ds_read_b128 v[4:7], v16 offset:240
	s_waitcnt lgkmcnt(1)
	v_add_f32_e32 v0, 0, v0
	v_add_f32_e32 v0, v0, v1
	;; [unrolled: 1-line block ×4, first 2 shown]
	global_store_dword v8, v0, s[0:1] offset:2048
	s_waitcnt lgkmcnt(0)
	v_add_f32_e32 v0, 0, v4
	v_add_f32_e32 v4, v0, v5
	ds_read_b128 v[0:3], v16 offset:256
	v_add_f32_e32 v4, v4, v6
	v_add_f32_e32 v4, v4, v7
	global_store_dword v8, v4, s[0:1] offset:3072
	ds_read_b128 v[4:7], v16 offset:272
	s_waitcnt lgkmcnt(1)
	v_add_f32_e32 v0, 0, v0
	v_add_f32_e32 v0, v0, v1
	;; [unrolled: 1-line block ×4, first 2 shown]
	v_mov_b32_e32 v8, 0x4000
	global_store_dword v8, v0, s[0:1]
	ds_read_b128 v[0:3], v16 offset:288
	s_waitcnt lgkmcnt(1)
	v_add_f32_e32 v4, 0, v4
	v_add_f32_e32 v4, v4, v5
	;; [unrolled: 1-line block ×4, first 2 shown]
	s_waitcnt lgkmcnt(0)
	v_add_f32_e32 v0, 0, v0
	v_add_f32_e32 v0, v0, v1
	v_add_f32_e32 v0, v0, v2
	v_add_f32_e32 v0, v0, v3
	global_store_dword v8, v4, s[0:1] offset:1024
	global_store_dword v8, v0, s[0:1] offset:2048
.LBB50_42:
	s_endpgm
	.section	.rodata,"a",@progbits
	.p2align	6, 0x0
	.amdhsa_kernel _Z23fp32_router_gemm_kernelI14__hip_bfloat16Li128ELi19ELi256ELi3072EEvPfPKT_PKf
		.amdhsa_group_segment_fixed_size 304
		.amdhsa_private_segment_fixed_size 0
		.amdhsa_kernarg_size 24
		.amdhsa_user_sgpr_count 6
		.amdhsa_user_sgpr_private_segment_buffer 1
		.amdhsa_user_sgpr_dispatch_ptr 0
		.amdhsa_user_sgpr_queue_ptr 0
		.amdhsa_user_sgpr_kernarg_segment_ptr 1
		.amdhsa_user_sgpr_dispatch_id 0
		.amdhsa_user_sgpr_flat_scratch_init 0
		.amdhsa_user_sgpr_kernarg_preload_length 0
		.amdhsa_user_sgpr_kernarg_preload_offset 0
		.amdhsa_user_sgpr_private_segment_size 0
		.amdhsa_uses_dynamic_stack 0
		.amdhsa_system_sgpr_private_segment_wavefront_offset 0
		.amdhsa_system_sgpr_workgroup_id_x 1
		.amdhsa_system_sgpr_workgroup_id_y 0
		.amdhsa_system_sgpr_workgroup_id_z 0
		.amdhsa_system_sgpr_workgroup_info 0
		.amdhsa_system_vgpr_workitem_id 0
		.amdhsa_next_free_vgpr 40
		.amdhsa_next_free_sgpr 27
		.amdhsa_accum_offset 40
		.amdhsa_reserve_vcc 1
		.amdhsa_reserve_flat_scratch 0
		.amdhsa_float_round_mode_32 0
		.amdhsa_float_round_mode_16_64 0
		.amdhsa_float_denorm_mode_32 3
		.amdhsa_float_denorm_mode_16_64 3
		.amdhsa_dx10_clamp 1
		.amdhsa_ieee_mode 1
		.amdhsa_fp16_overflow 0
		.amdhsa_tg_split 0
		.amdhsa_exception_fp_ieee_invalid_op 0
		.amdhsa_exception_fp_denorm_src 0
		.amdhsa_exception_fp_ieee_div_zero 0
		.amdhsa_exception_fp_ieee_overflow 0
		.amdhsa_exception_fp_ieee_underflow 0
		.amdhsa_exception_fp_ieee_inexact 0
		.amdhsa_exception_int_div_zero 0
	.end_amdhsa_kernel
	.section	.text._Z23fp32_router_gemm_kernelI14__hip_bfloat16Li128ELi19ELi256ELi3072EEvPfPKT_PKf,"axG",@progbits,_Z23fp32_router_gemm_kernelI14__hip_bfloat16Li128ELi19ELi256ELi3072EEvPfPKT_PKf,comdat
.Lfunc_end50:
	.size	_Z23fp32_router_gemm_kernelI14__hip_bfloat16Li128ELi19ELi256ELi3072EEvPfPKT_PKf, .Lfunc_end50-_Z23fp32_router_gemm_kernelI14__hip_bfloat16Li128ELi19ELi256ELi3072EEvPfPKT_PKf
                                        ; -- End function
	.section	.AMDGPU.csdata,"",@progbits
; Kernel info:
; codeLenInByte = 5624
; NumSgprs: 31
; NumVgprs: 40
; NumAgprs: 0
; TotalNumVgprs: 40
; ScratchSize: 0
; MemoryBound: 0
; FloatMode: 240
; IeeeMode: 1
; LDSByteSize: 304 bytes/workgroup (compile time only)
; SGPRBlocks: 3
; VGPRBlocks: 4
; NumSGPRsForWavesPerEU: 31
; NumVGPRsForWavesPerEU: 40
; AccumOffset: 40
; Occupancy: 8
; WaveLimiterHint : 1
; COMPUTE_PGM_RSRC2:SCRATCH_EN: 0
; COMPUTE_PGM_RSRC2:USER_SGPR: 6
; COMPUTE_PGM_RSRC2:TRAP_HANDLER: 0
; COMPUTE_PGM_RSRC2:TGID_X_EN: 1
; COMPUTE_PGM_RSRC2:TGID_Y_EN: 0
; COMPUTE_PGM_RSRC2:TGID_Z_EN: 0
; COMPUTE_PGM_RSRC2:TIDIG_COMP_CNT: 0
; COMPUTE_PGM_RSRC3_GFX90A:ACCUM_OFFSET: 9
; COMPUTE_PGM_RSRC3_GFX90A:TG_SPLIT: 0
	.section	.text._Z23fp32_router_gemm_kernelI14__hip_bfloat16Li128ELi20ELi256ELi3072EEvPfPKT_PKf,"axG",@progbits,_Z23fp32_router_gemm_kernelI14__hip_bfloat16Li128ELi20ELi256ELi3072EEvPfPKT_PKf,comdat
	.protected	_Z23fp32_router_gemm_kernelI14__hip_bfloat16Li128ELi20ELi256ELi3072EEvPfPKT_PKf ; -- Begin function _Z23fp32_router_gemm_kernelI14__hip_bfloat16Li128ELi20ELi256ELi3072EEvPfPKT_PKf
	.globl	_Z23fp32_router_gemm_kernelI14__hip_bfloat16Li128ELi20ELi256ELi3072EEvPfPKT_PKf
	.p2align	8
	.type	_Z23fp32_router_gemm_kernelI14__hip_bfloat16Li128ELi20ELi256ELi3072EEvPfPKT_PKf,@function
_Z23fp32_router_gemm_kernelI14__hip_bfloat16Li128ELi20ELi256ELi3072EEvPfPKT_PKf: ; @_Z23fp32_router_gemm_kernelI14__hip_bfloat16Li128ELi20ELi256ELi3072EEvPfPKT_PKf
; %bb.0:
	s_load_dwordx4 s[0:3], s[4:5], 0x0
	s_load_dwordx2 s[8:9], s[4:5], 0x10
	s_mul_i32 s4, s6, 0xc00
	s_ashr_i32 s5, s4, 31
	s_lshl_b64 s[4:5], s[4:5], 2
	v_lshlrev_b32_e32 v10, 3, v0
	s_waitcnt lgkmcnt(0)
	s_add_u32 s4, s8, s4
	v_or_b32_e32 v1, 0x400, v10
	v_or_b32_e32 v12, 0x800, v10
	s_addc_u32 s5, s9, s5
	s_mov_b64 s[8:9], 0
	v_mov_b32_e32 v31, 0
	v_mov_b32_e32 v32, s3
	s_movk_i32 s7, 0x1000
	s_movk_i32 s10, 0x3000
	;; [unrolled: 1-line block ×5, first 2 shown]
	s_mov_b32 s14, 0x9000
	s_mov_b32 s15, 0xa000
	;; [unrolled: 1-line block ×14, first 2 shown]
	v_mov_b32_e32 v30, 0
	v_mov_b32_e32 v29, 0
	;; [unrolled: 1-line block ×19, first 2 shown]
.LBB51_1:                               ; =>This Inner Loop Header: Depth=1
	s_cmp_eq_u32 s8, 1
	s_cselect_b64 vcc, -1, 0
	s_cmp_eq_u32 s8, 2
	v_cndmask_b32_e32 v2, v10, v1, vcc
	s_cselect_b64 vcc, -1, 0
	v_cndmask_b32_e32 v2, v2, v12, vcc
	v_lshlrev_b32_e32 v35, 2, v2
	v_lshlrev_b32_e32 v40, 1, v2
	global_load_dwordx4 v[2:5], v35, s[4:5] offset:16
	global_load_dwordx4 v[6:9], v35, s[4:5]
	global_load_dwordx4 v[36:39], v40, s[2:3]
	v_add_co_u32_e32 v33, vcc, s2, v40
	v_addc_co_u32_e32 v34, vcc, 0, v32, vcc
	s_add_u32 s8, s8, 1
	s_addc_u32 s9, s9, 0
	s_cmp_eq_u32 s8, 3
	s_waitcnt vmcnt(0)
	v_and_b32_e32 v41, 0xffff0000, v36
	v_lshlrev_b32_e32 v40, 16, v36
	v_pk_mul_f32 v[40:41], v[6:7], v[40:41]
	v_add_f32_e32 v31, v40, v31
	v_add_f32_e32 v31, v41, v31
	v_and_b32_e32 v41, 0xffff0000, v37
	v_lshlrev_b32_e32 v40, 16, v37
	v_pk_mul_f32 v[36:37], v[8:9], v[40:41]
	v_add_f32_e32 v31, v36, v31
	v_add_f32_e32 v31, v37, v31
	v_and_b32_e32 v37, 0xffff0000, v38
	v_lshlrev_b32_e32 v36, 16, v38
	v_pk_mul_f32 v[36:37], v[2:3], v[36:37]
	v_add_f32_e32 v31, v36, v31
	v_add_f32_e32 v31, v37, v31
	v_and_b32_e32 v37, 0xffff0000, v39
	v_lshlrev_b32_e32 v36, 16, v39
	v_pk_mul_f32 v[36:37], v[4:5], v[36:37]
	v_add_f32_e32 v31, v36, v31
	v_add_co_u32_e32 v36, vcc, s7, v33
	v_add_f32_e32 v31, v37, v31
	v_addc_co_u32_e32 v37, vcc, 0, v34, vcc
	global_load_dwordx4 v[36:39], v[36:37], off offset:2048
	s_waitcnt vmcnt(0)
	v_and_b32_e32 v41, 0xffff0000, v36
	v_lshlrev_b32_e32 v40, 16, v36
	v_pk_mul_f32 v[40:41], v[6:7], v[40:41]
	v_add_f32_e32 v30, v40, v30
	v_add_f32_e32 v30, v41, v30
	v_and_b32_e32 v41, 0xffff0000, v37
	v_lshlrev_b32_e32 v40, 16, v37
	v_pk_mul_f32 v[36:37], v[8:9], v[40:41]
	v_add_f32_e32 v30, v36, v30
	v_add_f32_e32 v30, v37, v30
	v_and_b32_e32 v37, 0xffff0000, v38
	v_lshlrev_b32_e32 v36, 16, v38
	v_pk_mul_f32 v[36:37], v[2:3], v[36:37]
	v_add_f32_e32 v30, v36, v30
	v_add_f32_e32 v30, v37, v30
	v_and_b32_e32 v37, 0xffff0000, v39
	v_lshlrev_b32_e32 v36, 16, v39
	v_pk_mul_f32 v[36:37], v[4:5], v[36:37]
	v_add_f32_e32 v30, v36, v30
	v_add_co_u32_e32 v36, vcc, s10, v33
	v_add_f32_e32 v30, v37, v30
	v_addc_co_u32_e32 v37, vcc, 0, v34, vcc
	global_load_dwordx4 v[36:39], v[36:37], off
	s_waitcnt vmcnt(0)
	v_and_b32_e32 v41, 0xffff0000, v36
	v_lshlrev_b32_e32 v40, 16, v36
	v_pk_mul_f32 v[40:41], v[6:7], v[40:41]
	v_add_f32_e32 v29, v40, v29
	v_add_f32_e32 v29, v41, v29
	v_and_b32_e32 v41, 0xffff0000, v37
	v_lshlrev_b32_e32 v40, 16, v37
	v_pk_mul_f32 v[36:37], v[8:9], v[40:41]
	v_add_f32_e32 v29, v36, v29
	v_add_f32_e32 v29, v37, v29
	v_and_b32_e32 v37, 0xffff0000, v38
	v_lshlrev_b32_e32 v36, 16, v38
	v_pk_mul_f32 v[36:37], v[2:3], v[36:37]
	v_add_f32_e32 v29, v36, v29
	v_add_f32_e32 v29, v37, v29
	v_and_b32_e32 v37, 0xffff0000, v39
	v_lshlrev_b32_e32 v36, 16, v39
	v_pk_mul_f32 v[36:37], v[4:5], v[36:37]
	v_add_f32_e32 v29, v36, v29
	v_add_co_u32_e32 v36, vcc, s11, v33
	v_add_f32_e32 v29, v37, v29
	v_addc_co_u32_e32 v37, vcc, 0, v34, vcc
	global_load_dwordx4 v[36:39], v[36:37], off offset:2048
	s_waitcnt vmcnt(0)
	v_and_b32_e32 v41, 0xffff0000, v36
	v_lshlrev_b32_e32 v40, 16, v36
	v_pk_mul_f32 v[40:41], v[6:7], v[40:41]
	v_add_f32_e32 v28, v40, v28
	v_add_f32_e32 v28, v41, v28
	v_and_b32_e32 v41, 0xffff0000, v37
	v_lshlrev_b32_e32 v40, 16, v37
	v_pk_mul_f32 v[36:37], v[8:9], v[40:41]
	v_add_f32_e32 v28, v36, v28
	v_add_f32_e32 v28, v37, v28
	v_and_b32_e32 v37, 0xffff0000, v38
	v_lshlrev_b32_e32 v36, 16, v38
	v_pk_mul_f32 v[36:37], v[2:3], v[36:37]
	v_add_f32_e32 v28, v36, v28
	v_add_f32_e32 v28, v37, v28
	v_and_b32_e32 v37, 0xffff0000, v39
	v_lshlrev_b32_e32 v36, 16, v39
	v_pk_mul_f32 v[36:37], v[4:5], v[36:37]
	v_add_f32_e32 v28, v36, v28
	v_add_co_u32_e32 v36, vcc, s12, v33
	v_add_f32_e32 v28, v37, v28
	v_addc_co_u32_e32 v37, vcc, 0, v34, vcc
	global_load_dwordx4 v[36:39], v[36:37], off
	;; [unrolled: 48-line block ×9, first 2 shown]
	s_waitcnt vmcnt(0)
	v_and_b32_e32 v41, 0xffff0000, v36
	v_lshlrev_b32_e32 v40, 16, v36
	v_pk_mul_f32 v[40:41], v[6:7], v[40:41]
	v_add_f32_e32 v11, v40, v11
	v_add_f32_e32 v11, v41, v11
	v_and_b32_e32 v41, 0xffff0000, v37
	v_lshlrev_b32_e32 v40, 16, v37
	v_pk_mul_f32 v[36:37], v[8:9], v[40:41]
	v_add_f32_e32 v11, v36, v11
	v_add_f32_e32 v11, v37, v11
	;; [unrolled: 5-line block ×3, first 2 shown]
	v_and_b32_e32 v37, 0xffff0000, v39
	v_lshlrev_b32_e32 v36, 16, v39
	v_pk_mul_f32 v[36:37], v[4:5], v[36:37]
	v_add_f32_e32 v11, v36, v11
	v_add_co_u32_e32 v36, vcc, s27, v33
	v_add_f32_e32 v11, v37, v11
	v_addc_co_u32_e32 v37, vcc, 0, v34, vcc
	global_load_dwordx4 v[34:37], v[36:37], off offset:2048
	s_waitcnt vmcnt(0)
	v_and_b32_e32 v39, 0xffff0000, v34
	v_lshlrev_b32_e32 v38, 16, v34
	v_pk_mul_f32 v[6:7], v[6:7], v[38:39]
	v_add_f32_e32 v6, v6, v17
	v_add_f32_e32 v17, v7, v6
	v_and_b32_e32 v7, 0xffff0000, v35
	v_lshlrev_b32_e32 v6, 16, v35
	v_pk_mul_f32 v[6:7], v[8:9], v[6:7]
	v_add_f32_e32 v6, v6, v17
	v_add_f32_e32 v8, v7, v6
	;; [unrolled: 5-line block ×4, first 2 shown]
	s_cbranch_scc0 .LBB51_1
; %bb.2:
	v_mbcnt_lo_u32_b32 v1, -1, 0
	v_mbcnt_hi_u32_b32 v5, -1, v1
	v_and_b32_e32 v2, 64, v5
	v_xor_b32_e32 v1, 16, v5
	v_add_u32_e32 v6, 64, v2
	v_cmp_lt_i32_e32 vcc, v1, v6
	v_cndmask_b32_e32 v1, v5, v1, vcc
	v_lshlrev_b32_e32 v1, 2, v1
	ds_bpermute_b32 v3, v1, v31
	v_xor_b32_e32 v2, 8, v5
	v_cmp_lt_i32_e32 vcc, v2, v6
	v_cndmask_b32_e32 v2, v5, v2, vcc
	v_lshlrev_b32_e32 v2, 2, v2
	s_waitcnt lgkmcnt(0)
	v_add_f32_e32 v4, v31, v3
	ds_bpermute_b32 v7, v2, v4
	v_xor_b32_e32 v3, 4, v5
	v_cmp_lt_i32_e32 vcc, v3, v6
	v_cndmask_b32_e32 v3, v5, v3, vcc
	v_lshlrev_b32_e32 v3, 2, v3
	s_waitcnt lgkmcnt(0)
	v_add_f32_e32 v7, v4, v7
	ds_bpermute_b32 v8, v3, v7
	v_xor_b32_e32 v4, 2, v5
	v_cmp_lt_i32_e32 vcc, v4, v6
	v_cndmask_b32_e32 v4, v5, v4, vcc
	v_lshlrev_b32_e32 v4, 2, v4
	s_waitcnt lgkmcnt(0)
	v_add_f32_e32 v7, v7, v8
	ds_bpermute_b32 v8, v4, v7
	v_xor_b32_e32 v9, 1, v5
	v_cmp_lt_i32_e32 vcc, v9, v6
	v_cndmask_b32_e32 v5, v5, v9, vcc
	v_lshlrev_b32_e32 v6, 2, v5
	s_waitcnt lgkmcnt(0)
	v_add_f32_e32 v7, v7, v8
	ds_bpermute_b32 v8, v6, v7
	v_lshrrev_b32_e32 v5, 5, v0
	v_and_b32_e32 v9, 31, v0
	v_cmp_eq_u32_e32 vcc, 0, v9
	v_lshlrev_b32_e32 v5, 2, v5
	s_and_saveexec_b64 s[2:3], vcc
	s_cbranch_execz .LBB51_4
; %bb.3:
	s_waitcnt lgkmcnt(0)
	v_add_f32_e32 v7, v7, v8
	ds_write_b32 v5, v7
.LBB51_4:
	s_or_b64 exec, exec, s[2:3]
	ds_bpermute_b32 v7, v1, v30
	s_waitcnt lgkmcnt(0)
	v_add_f32_e32 v7, v30, v7
	ds_bpermute_b32 v8, v2, v7
	s_waitcnt lgkmcnt(0)
	v_add_f32_e32 v7, v7, v8
	ds_bpermute_b32 v8, v3, v7
	s_waitcnt lgkmcnt(0)
	v_add_f32_e32 v7, v7, v8
	ds_bpermute_b32 v8, v4, v7
	s_waitcnt lgkmcnt(0)
	v_add_f32_e32 v7, v7, v8
	ds_bpermute_b32 v8, v6, v7
	s_and_saveexec_b64 s[2:3], vcc
	s_cbranch_execz .LBB51_6
; %bb.5:
	s_waitcnt lgkmcnt(0)
	v_add_f32_e32 v7, v7, v8
	ds_write_b32 v5, v7 offset:16
.LBB51_6:
	s_or_b64 exec, exec, s[2:3]
	ds_bpermute_b32 v7, v1, v29
	s_waitcnt lgkmcnt(0)
	v_add_f32_e32 v7, v29, v7
	ds_bpermute_b32 v8, v2, v7
	s_waitcnt lgkmcnt(0)
	v_add_f32_e32 v7, v7, v8
	ds_bpermute_b32 v8, v3, v7
	s_waitcnt lgkmcnt(0)
	v_add_f32_e32 v7, v7, v8
	ds_bpermute_b32 v8, v4, v7
	s_waitcnt lgkmcnt(0)
	v_add_f32_e32 v7, v7, v8
	ds_bpermute_b32 v8, v6, v7
	s_and_saveexec_b64 s[2:3], vcc
	s_cbranch_execz .LBB51_8
; %bb.7:
	s_waitcnt lgkmcnt(0)
	v_add_f32_e32 v7, v7, v8
	ds_write_b32 v5, v7 offset:32
.LBB51_8:
	;; [unrolled: 21-line block ×19, first 2 shown]
	s_or_b64 exec, exec, s[2:3]
	v_cmp_eq_u32_e32 vcc, 0, v0
	s_waitcnt lgkmcnt(0)
	s_barrier
	s_and_saveexec_b64 s[2:3], vcc
	s_cbranch_execz .LBB51_44
; %bb.43:
	v_mov_b32_e32 v16, 0
	ds_read_b128 v[0:3], v16
	s_ashr_i32 s7, s6, 31
	ds_read_b128 v[4:7], v16 offset:16
	ds_read_b128 v[8:11], v16 offset:32
	;; [unrolled: 1-line block ×3, first 2 shown]
	s_lshl_b64 s[2:3], s[6:7], 2
	s_add_u32 s0, s0, s2
	s_waitcnt lgkmcnt(3)
	v_add_f32_e32 v0, 0, v0
	v_add_f32_e32 v0, v0, v1
	;; [unrolled: 1-line block ×4, first 2 shown]
	s_addc_u32 s1, s1, s3
	global_store_dword v16, v0, s[0:1]
	s_waitcnt lgkmcnt(2)
	v_add_f32_e32 v0, 0, v4
	v_add_f32_e32 v0, v0, v5
	;; [unrolled: 1-line block ×4, first 2 shown]
	global_store_dword v16, v0, s[0:1] offset:1024
	s_waitcnt lgkmcnt(1)
	v_add_f32_e32 v0, 0, v8
	v_add_f32_e32 v0, v0, v9
	;; [unrolled: 1-line block ×4, first 2 shown]
	global_store_dword v16, v0, s[0:1] offset:2048
	s_waitcnt lgkmcnt(0)
	v_add_f32_e32 v0, 0, v12
	v_add_f32_e32 v4, v0, v13
	ds_read_b128 v[0:3], v16 offset:64
	v_add_f32_e32 v4, v4, v14
	v_add_f32_e32 v4, v4, v15
	global_store_dword v16, v4, s[0:1] offset:3072
	ds_read_b128 v[4:7], v16 offset:80
	s_waitcnt lgkmcnt(1)
	v_add_f32_e32 v0, 0, v0
	v_add_f32_e32 v0, v0, v1
	;; [unrolled: 1-line block ×4, first 2 shown]
	v_mov_b32_e32 v8, 0x1000
	global_store_dword v8, v0, s[0:1]
	s_waitcnt lgkmcnt(0)
	v_add_f32_e32 v0, 0, v4
	v_add_f32_e32 v4, v0, v5
	ds_read_b128 v[0:3], v16 offset:96
	v_add_f32_e32 v4, v4, v6
	v_add_f32_e32 v4, v4, v7
	global_store_dword v8, v4, s[0:1] offset:1024
	ds_read_b128 v[4:7], v16 offset:112
	s_waitcnt lgkmcnt(1)
	v_add_f32_e32 v0, 0, v0
	v_add_f32_e32 v0, v0, v1
	;; [unrolled: 1-line block ×4, first 2 shown]
	global_store_dword v8, v0, s[0:1] offset:2048
	s_waitcnt lgkmcnt(0)
	v_add_f32_e32 v0, 0, v4
	v_add_f32_e32 v4, v0, v5
	ds_read_b128 v[0:3], v16 offset:128
	v_add_f32_e32 v4, v4, v6
	v_add_f32_e32 v4, v4, v7
	global_store_dword v8, v4, s[0:1] offset:3072
	ds_read_b128 v[4:7], v16 offset:144
	s_waitcnt lgkmcnt(1)
	v_add_f32_e32 v0, 0, v0
	v_add_f32_e32 v0, v0, v1
	;; [unrolled: 1-line block ×4, first 2 shown]
	v_mov_b32_e32 v12, 0x2000
	global_store_dword v12, v0, s[0:1]
	ds_read_b128 v[0:3], v16 offset:160
	ds_read_b128 v[8:11], v16 offset:176
	s_waitcnt lgkmcnt(2)
	v_add_f32_e32 v4, 0, v4
	v_add_f32_e32 v4, v4, v5
	;; [unrolled: 1-line block ×3, first 2 shown]
	s_waitcnt lgkmcnt(1)
	v_add_f32_e32 v0, 0, v0
	v_add_f32_e32 v0, v0, v1
	;; [unrolled: 1-line block ×5, first 2 shown]
	global_store_dword v12, v0, s[0:1] offset:2048
	s_waitcnt lgkmcnt(0)
	v_add_f32_e32 v0, 0, v8
	global_store_dword v12, v4, s[0:1] offset:1024
	v_add_f32_e32 v4, v0, v9
	ds_read_b128 v[0:3], v16 offset:192
	v_add_f32_e32 v4, v4, v10
	v_add_f32_e32 v4, v4, v11
	global_store_dword v12, v4, s[0:1] offset:3072
	ds_read_b128 v[4:7], v16 offset:208
	s_waitcnt lgkmcnt(1)
	v_add_f32_e32 v0, 0, v0
	v_add_f32_e32 v0, v0, v1
	;; [unrolled: 1-line block ×4, first 2 shown]
	v_mov_b32_e32 v8, 0x3000
	global_store_dword v8, v0, s[0:1]
	s_waitcnt lgkmcnt(0)
	v_add_f32_e32 v0, 0, v4
	v_add_f32_e32 v4, v0, v5
	ds_read_b128 v[0:3], v16 offset:224
	v_add_f32_e32 v4, v4, v6
	v_add_f32_e32 v4, v4, v7
	global_store_dword v8, v4, s[0:1] offset:1024
	ds_read_b128 v[4:7], v16 offset:240
	s_waitcnt lgkmcnt(1)
	v_add_f32_e32 v0, 0, v0
	v_add_f32_e32 v0, v0, v1
	;; [unrolled: 1-line block ×4, first 2 shown]
	global_store_dword v8, v0, s[0:1] offset:2048
	s_waitcnt lgkmcnt(0)
	v_add_f32_e32 v0, 0, v4
	v_add_f32_e32 v4, v0, v5
	ds_read_b128 v[0:3], v16 offset:256
	v_add_f32_e32 v4, v4, v6
	v_add_f32_e32 v4, v4, v7
	global_store_dword v8, v4, s[0:1] offset:3072
	ds_read_b128 v[4:7], v16 offset:272
	s_waitcnt lgkmcnt(1)
	v_add_f32_e32 v0, 0, v0
	v_add_f32_e32 v0, v0, v1
	v_add_f32_e32 v0, v0, v2
	v_add_f32_e32 v0, v0, v3
	v_mov_b32_e32 v12, 0x4000
	global_store_dword v12, v0, s[0:1]
	ds_read_b128 v[0:3], v16 offset:288
	ds_read_b128 v[8:11], v16 offset:304
	s_waitcnt lgkmcnt(2)
	v_add_f32_e32 v4, 0, v4
	v_add_f32_e32 v4, v4, v5
	;; [unrolled: 1-line block ×3, first 2 shown]
	s_waitcnt lgkmcnt(1)
	v_add_f32_e32 v0, 0, v0
	v_add_f32_e32 v0, v0, v1
	;; [unrolled: 1-line block ×4, first 2 shown]
	global_store_dword v12, v0, s[0:1] offset:2048
	s_waitcnt lgkmcnt(0)
	v_add_f32_e32 v0, 0, v8
	v_add_f32_e32 v0, v0, v9
	;; [unrolled: 1-line block ×5, first 2 shown]
	global_store_dword v12, v4, s[0:1] offset:1024
	global_store_dword v12, v0, s[0:1] offset:3072
.LBB51_44:
	s_endpgm
	.section	.rodata,"a",@progbits
	.p2align	6, 0x0
	.amdhsa_kernel _Z23fp32_router_gemm_kernelI14__hip_bfloat16Li128ELi20ELi256ELi3072EEvPfPKT_PKf
		.amdhsa_group_segment_fixed_size 320
		.amdhsa_private_segment_fixed_size 0
		.amdhsa_kernarg_size 24
		.amdhsa_user_sgpr_count 6
		.amdhsa_user_sgpr_private_segment_buffer 1
		.amdhsa_user_sgpr_dispatch_ptr 0
		.amdhsa_user_sgpr_queue_ptr 0
		.amdhsa_user_sgpr_kernarg_segment_ptr 1
		.amdhsa_user_sgpr_dispatch_id 0
		.amdhsa_user_sgpr_flat_scratch_init 0
		.amdhsa_user_sgpr_kernarg_preload_length 0
		.amdhsa_user_sgpr_kernarg_preload_offset 0
		.amdhsa_user_sgpr_private_segment_size 0
		.amdhsa_uses_dynamic_stack 0
		.amdhsa_system_sgpr_private_segment_wavefront_offset 0
		.amdhsa_system_sgpr_workgroup_id_x 1
		.amdhsa_system_sgpr_workgroup_id_y 0
		.amdhsa_system_sgpr_workgroup_id_z 0
		.amdhsa_system_sgpr_workgroup_info 0
		.amdhsa_system_vgpr_workitem_id 0
		.amdhsa_next_free_vgpr 42
		.amdhsa_next_free_sgpr 28
		.amdhsa_accum_offset 44
		.amdhsa_reserve_vcc 1
		.amdhsa_reserve_flat_scratch 0
		.amdhsa_float_round_mode_32 0
		.amdhsa_float_round_mode_16_64 0
		.amdhsa_float_denorm_mode_32 3
		.amdhsa_float_denorm_mode_16_64 3
		.amdhsa_dx10_clamp 1
		.amdhsa_ieee_mode 1
		.amdhsa_fp16_overflow 0
		.amdhsa_tg_split 0
		.amdhsa_exception_fp_ieee_invalid_op 0
		.amdhsa_exception_fp_denorm_src 0
		.amdhsa_exception_fp_ieee_div_zero 0
		.amdhsa_exception_fp_ieee_overflow 0
		.amdhsa_exception_fp_ieee_underflow 0
		.amdhsa_exception_fp_ieee_inexact 0
		.amdhsa_exception_int_div_zero 0
	.end_amdhsa_kernel
	.section	.text._Z23fp32_router_gemm_kernelI14__hip_bfloat16Li128ELi20ELi256ELi3072EEvPfPKT_PKf,"axG",@progbits,_Z23fp32_router_gemm_kernelI14__hip_bfloat16Li128ELi20ELi256ELi3072EEvPfPKT_PKf,comdat
.Lfunc_end51:
	.size	_Z23fp32_router_gemm_kernelI14__hip_bfloat16Li128ELi20ELi256ELi3072EEvPfPKT_PKf, .Lfunc_end51-_Z23fp32_router_gemm_kernelI14__hip_bfloat16Li128ELi20ELi256ELi3072EEvPfPKT_PKf
                                        ; -- End function
	.section	.AMDGPU.csdata,"",@progbits
; Kernel info:
; codeLenInByte = 5904
; NumSgprs: 32
; NumVgprs: 42
; NumAgprs: 0
; TotalNumVgprs: 42
; ScratchSize: 0
; MemoryBound: 0
; FloatMode: 240
; IeeeMode: 1
; LDSByteSize: 320 bytes/workgroup (compile time only)
; SGPRBlocks: 3
; VGPRBlocks: 5
; NumSGPRsForWavesPerEU: 32
; NumVGPRsForWavesPerEU: 42
; AccumOffset: 44
; Occupancy: 8
; WaveLimiterHint : 1
; COMPUTE_PGM_RSRC2:SCRATCH_EN: 0
; COMPUTE_PGM_RSRC2:USER_SGPR: 6
; COMPUTE_PGM_RSRC2:TRAP_HANDLER: 0
; COMPUTE_PGM_RSRC2:TGID_X_EN: 1
; COMPUTE_PGM_RSRC2:TGID_Y_EN: 0
; COMPUTE_PGM_RSRC2:TGID_Z_EN: 0
; COMPUTE_PGM_RSRC2:TIDIG_COMP_CNT: 0
; COMPUTE_PGM_RSRC3_GFX90A:ACCUM_OFFSET: 10
; COMPUTE_PGM_RSRC3_GFX90A:TG_SPLIT: 0
	.section	.text._Z23fp32_router_gemm_kernelI14__hip_bfloat16Li128ELi21ELi256ELi3072EEvPfPKT_PKf,"axG",@progbits,_Z23fp32_router_gemm_kernelI14__hip_bfloat16Li128ELi21ELi256ELi3072EEvPfPKT_PKf,comdat
	.protected	_Z23fp32_router_gemm_kernelI14__hip_bfloat16Li128ELi21ELi256ELi3072EEvPfPKT_PKf ; -- Begin function _Z23fp32_router_gemm_kernelI14__hip_bfloat16Li128ELi21ELi256ELi3072EEvPfPKT_PKf
	.globl	_Z23fp32_router_gemm_kernelI14__hip_bfloat16Li128ELi21ELi256ELi3072EEvPfPKT_PKf
	.p2align	8
	.type	_Z23fp32_router_gemm_kernelI14__hip_bfloat16Li128ELi21ELi256ELi3072EEvPfPKT_PKf,@function
_Z23fp32_router_gemm_kernelI14__hip_bfloat16Li128ELi21ELi256ELi3072EEvPfPKT_PKf: ; @_Z23fp32_router_gemm_kernelI14__hip_bfloat16Li128ELi21ELi256ELi3072EEvPfPKT_PKf
; %bb.0:
	s_load_dwordx4 s[0:3], s[4:5], 0x0
	s_load_dwordx2 s[8:9], s[4:5], 0x10
	s_mul_i32 s4, s6, 0xc00
	s_ashr_i32 s5, s4, 31
	s_lshl_b64 s[4:5], s[4:5], 2
	v_lshlrev_b32_e32 v10, 3, v0
	s_waitcnt lgkmcnt(0)
	s_add_u32 s4, s8, s4
	v_or_b32_e32 v1, 0x400, v10
	v_or_b32_e32 v12, 0x800, v10
	s_addc_u32 s5, s9, s5
	s_mov_b64 s[8:9], 0
	v_mov_b32_e32 v32, 0
	v_mov_b32_e32 v33, s3
	s_movk_i32 s7, 0x1000
	s_movk_i32 s10, 0x3000
	;; [unrolled: 1-line block ×5, first 2 shown]
	s_mov_b32 s14, 0x9000
	s_mov_b32 s15, 0xa000
	;; [unrolled: 1-line block ×15, first 2 shown]
	v_mov_b32_e32 v31, 0
	v_mov_b32_e32 v30, 0
	;; [unrolled: 1-line block ×20, first 2 shown]
.LBB52_1:                               ; =>This Inner Loop Header: Depth=1
	s_cmp_eq_u32 s8, 1
	s_cselect_b64 vcc, -1, 0
	s_cmp_eq_u32 s8, 2
	v_cndmask_b32_e32 v2, v10, v1, vcc
	s_cselect_b64 vcc, -1, 0
	v_cndmask_b32_e32 v2, v2, v12, vcc
	v_lshlrev_b32_e32 v40, 2, v2
	v_lshlrev_b32_e32 v41, 1, v2
	global_load_dwordx4 v[2:5], v40, s[4:5] offset:16
	global_load_dwordx4 v[6:9], v40, s[4:5]
	global_load_dwordx4 v[36:39], v41, s[2:3]
	v_add_co_u32_e32 v34, vcc, s2, v41
	v_addc_co_u32_e32 v35, vcc, 0, v33, vcc
	s_add_u32 s8, s8, 1
	s_addc_u32 s9, s9, 0
	s_cmp_eq_u32 s8, 3
	s_waitcnt vmcnt(0)
	v_and_b32_e32 v41, 0xffff0000, v36
	v_lshlrev_b32_e32 v40, 16, v36
	v_pk_mul_f32 v[40:41], v[6:7], v[40:41]
	v_add_f32_e32 v32, v40, v32
	v_add_f32_e32 v32, v41, v32
	v_and_b32_e32 v41, 0xffff0000, v37
	v_lshlrev_b32_e32 v40, 16, v37
	v_pk_mul_f32 v[36:37], v[8:9], v[40:41]
	v_add_f32_e32 v32, v36, v32
	v_add_f32_e32 v32, v37, v32
	v_and_b32_e32 v37, 0xffff0000, v38
	v_lshlrev_b32_e32 v36, 16, v38
	v_pk_mul_f32 v[36:37], v[2:3], v[36:37]
	v_add_f32_e32 v32, v36, v32
	v_add_f32_e32 v32, v37, v32
	v_and_b32_e32 v37, 0xffff0000, v39
	v_lshlrev_b32_e32 v36, 16, v39
	v_pk_mul_f32 v[36:37], v[4:5], v[36:37]
	v_add_f32_e32 v32, v36, v32
	v_add_co_u32_e32 v36, vcc, s7, v34
	v_add_f32_e32 v32, v37, v32
	v_addc_co_u32_e32 v37, vcc, 0, v35, vcc
	global_load_dwordx4 v[36:39], v[36:37], off offset:2048
	s_waitcnt vmcnt(0)
	v_and_b32_e32 v41, 0xffff0000, v36
	v_lshlrev_b32_e32 v40, 16, v36
	v_pk_mul_f32 v[40:41], v[6:7], v[40:41]
	v_add_f32_e32 v31, v40, v31
	v_add_f32_e32 v31, v41, v31
	v_and_b32_e32 v41, 0xffff0000, v37
	v_lshlrev_b32_e32 v40, 16, v37
	v_pk_mul_f32 v[36:37], v[8:9], v[40:41]
	v_add_f32_e32 v31, v36, v31
	v_add_f32_e32 v31, v37, v31
	v_and_b32_e32 v37, 0xffff0000, v38
	v_lshlrev_b32_e32 v36, 16, v38
	v_pk_mul_f32 v[36:37], v[2:3], v[36:37]
	v_add_f32_e32 v31, v36, v31
	v_add_f32_e32 v31, v37, v31
	v_and_b32_e32 v37, 0xffff0000, v39
	v_lshlrev_b32_e32 v36, 16, v39
	v_pk_mul_f32 v[36:37], v[4:5], v[36:37]
	v_add_f32_e32 v31, v36, v31
	v_add_co_u32_e32 v36, vcc, s10, v34
	v_add_f32_e32 v31, v37, v31
	v_addc_co_u32_e32 v37, vcc, 0, v35, vcc
	global_load_dwordx4 v[36:39], v[36:37], off
	s_waitcnt vmcnt(0)
	v_and_b32_e32 v41, 0xffff0000, v36
	v_lshlrev_b32_e32 v40, 16, v36
	v_pk_mul_f32 v[40:41], v[6:7], v[40:41]
	v_add_f32_e32 v30, v40, v30
	v_add_f32_e32 v30, v41, v30
	v_and_b32_e32 v41, 0xffff0000, v37
	v_lshlrev_b32_e32 v40, 16, v37
	v_pk_mul_f32 v[36:37], v[8:9], v[40:41]
	v_add_f32_e32 v30, v36, v30
	v_add_f32_e32 v30, v37, v30
	v_and_b32_e32 v37, 0xffff0000, v38
	v_lshlrev_b32_e32 v36, 16, v38
	v_pk_mul_f32 v[36:37], v[2:3], v[36:37]
	v_add_f32_e32 v30, v36, v30
	v_add_f32_e32 v30, v37, v30
	v_and_b32_e32 v37, 0xffff0000, v39
	v_lshlrev_b32_e32 v36, 16, v39
	v_pk_mul_f32 v[36:37], v[4:5], v[36:37]
	v_add_f32_e32 v30, v36, v30
	v_add_co_u32_e32 v36, vcc, s11, v34
	v_add_f32_e32 v30, v37, v30
	v_addc_co_u32_e32 v37, vcc, 0, v35, vcc
	global_load_dwordx4 v[36:39], v[36:37], off offset:2048
	s_waitcnt vmcnt(0)
	v_and_b32_e32 v41, 0xffff0000, v36
	v_lshlrev_b32_e32 v40, 16, v36
	v_pk_mul_f32 v[40:41], v[6:7], v[40:41]
	v_add_f32_e32 v29, v40, v29
	v_add_f32_e32 v29, v41, v29
	v_and_b32_e32 v41, 0xffff0000, v37
	v_lshlrev_b32_e32 v40, 16, v37
	v_pk_mul_f32 v[36:37], v[8:9], v[40:41]
	v_add_f32_e32 v29, v36, v29
	v_add_f32_e32 v29, v37, v29
	v_and_b32_e32 v37, 0xffff0000, v38
	v_lshlrev_b32_e32 v36, 16, v38
	v_pk_mul_f32 v[36:37], v[2:3], v[36:37]
	v_add_f32_e32 v29, v36, v29
	v_add_f32_e32 v29, v37, v29
	v_and_b32_e32 v37, 0xffff0000, v39
	v_lshlrev_b32_e32 v36, 16, v39
	v_pk_mul_f32 v[36:37], v[4:5], v[36:37]
	v_add_f32_e32 v29, v36, v29
	v_add_co_u32_e32 v36, vcc, s12, v34
	v_add_f32_e32 v29, v37, v29
	v_addc_co_u32_e32 v37, vcc, 0, v35, vcc
	global_load_dwordx4 v[36:39], v[36:37], off
	;; [unrolled: 48-line block ×9, first 2 shown]
	s_waitcnt vmcnt(0)
	v_and_b32_e32 v41, 0xffff0000, v36
	v_lshlrev_b32_e32 v40, 16, v36
	v_pk_mul_f32 v[40:41], v[6:7], v[40:41]
	v_add_f32_e32 v13, v40, v13
	v_add_f32_e32 v13, v41, v13
	v_and_b32_e32 v41, 0xffff0000, v37
	v_lshlrev_b32_e32 v40, 16, v37
	v_pk_mul_f32 v[36:37], v[8:9], v[40:41]
	v_add_f32_e32 v13, v36, v13
	v_add_f32_e32 v13, v37, v13
	;; [unrolled: 5-line block ×3, first 2 shown]
	v_and_b32_e32 v37, 0xffff0000, v39
	v_lshlrev_b32_e32 v36, 16, v39
	v_pk_mul_f32 v[36:37], v[4:5], v[36:37]
	v_add_f32_e32 v13, v36, v13
	v_add_co_u32_e32 v36, vcc, s27, v34
	v_add_f32_e32 v13, v37, v13
	v_addc_co_u32_e32 v37, vcc, 0, v35, vcc
	global_load_dwordx4 v[36:39], v[36:37], off offset:2048
	v_add_co_u32_e32 v34, vcc, s28, v34
	v_addc_co_u32_e32 v35, vcc, 0, v35, vcc
	s_waitcnt vmcnt(0)
	v_and_b32_e32 v41, 0xffff0000, v36
	v_lshlrev_b32_e32 v40, 16, v36
	v_pk_mul_f32 v[40:41], v[6:7], v[40:41]
	v_add_f32_e32 v11, v40, v11
	v_add_f32_e32 v11, v41, v11
	v_and_b32_e32 v41, 0xffff0000, v37
	v_lshlrev_b32_e32 v40, 16, v37
	v_pk_mul_f32 v[36:37], v[8:9], v[40:41]
	v_add_f32_e32 v11, v36, v11
	v_add_f32_e32 v11, v37, v11
	;; [unrolled: 5-line block ×4, first 2 shown]
	global_load_dwordx4 v[34:37], v[34:35], off
	s_waitcnt vmcnt(0)
	v_and_b32_e32 v39, 0xffff0000, v34
	v_lshlrev_b32_e32 v38, 16, v34
	v_pk_mul_f32 v[6:7], v[6:7], v[38:39]
	v_add_f32_e32 v6, v6, v16
	v_add_f32_e32 v16, v7, v6
	v_and_b32_e32 v7, 0xffff0000, v35
	v_lshlrev_b32_e32 v6, 16, v35
	v_pk_mul_f32 v[6:7], v[8:9], v[6:7]
	v_add_f32_e32 v6, v6, v16
	v_add_f32_e32 v8, v7, v6
	;; [unrolled: 5-line block ×4, first 2 shown]
	s_cbranch_scc0 .LBB52_1
; %bb.2:
	v_mbcnt_lo_u32_b32 v1, -1, 0
	v_mbcnt_hi_u32_b32 v5, -1, v1
	v_and_b32_e32 v2, 64, v5
	v_xor_b32_e32 v1, 16, v5
	v_add_u32_e32 v6, 64, v2
	v_cmp_lt_i32_e32 vcc, v1, v6
	v_cndmask_b32_e32 v1, v5, v1, vcc
	v_lshlrev_b32_e32 v1, 2, v1
	ds_bpermute_b32 v3, v1, v32
	v_xor_b32_e32 v2, 8, v5
	v_cmp_lt_i32_e32 vcc, v2, v6
	v_cndmask_b32_e32 v2, v5, v2, vcc
	v_lshlrev_b32_e32 v2, 2, v2
	s_waitcnt lgkmcnt(0)
	v_add_f32_e32 v4, v32, v3
	ds_bpermute_b32 v7, v2, v4
	v_xor_b32_e32 v3, 4, v5
	v_cmp_lt_i32_e32 vcc, v3, v6
	v_cndmask_b32_e32 v3, v5, v3, vcc
	v_lshlrev_b32_e32 v3, 2, v3
	s_waitcnt lgkmcnt(0)
	v_add_f32_e32 v7, v4, v7
	;; [unrolled: 7-line block ×4, first 2 shown]
	ds_bpermute_b32 v8, v6, v7
	v_lshrrev_b32_e32 v5, 5, v0
	v_and_b32_e32 v9, 31, v0
	v_cmp_eq_u32_e32 vcc, 0, v9
	v_lshlrev_b32_e32 v5, 2, v5
	s_and_saveexec_b64 s[2:3], vcc
	s_cbranch_execz .LBB52_4
; %bb.3:
	s_waitcnt lgkmcnt(0)
	v_add_f32_e32 v7, v7, v8
	ds_write_b32 v5, v7
.LBB52_4:
	s_or_b64 exec, exec, s[2:3]
	ds_bpermute_b32 v7, v1, v31
	s_waitcnt lgkmcnt(0)
	v_add_f32_e32 v7, v31, v7
	ds_bpermute_b32 v8, v2, v7
	s_waitcnt lgkmcnt(0)
	v_add_f32_e32 v7, v7, v8
	ds_bpermute_b32 v8, v3, v7
	s_waitcnt lgkmcnt(0)
	v_add_f32_e32 v7, v7, v8
	ds_bpermute_b32 v8, v4, v7
	s_waitcnt lgkmcnt(0)
	v_add_f32_e32 v7, v7, v8
	ds_bpermute_b32 v8, v6, v7
	s_and_saveexec_b64 s[2:3], vcc
	s_cbranch_execz .LBB52_6
; %bb.5:
	s_waitcnt lgkmcnt(0)
	v_add_f32_e32 v7, v7, v8
	ds_write_b32 v5, v7 offset:16
.LBB52_6:
	s_or_b64 exec, exec, s[2:3]
	ds_bpermute_b32 v7, v1, v30
	s_waitcnt lgkmcnt(0)
	v_add_f32_e32 v7, v30, v7
	ds_bpermute_b32 v8, v2, v7
	s_waitcnt lgkmcnt(0)
	v_add_f32_e32 v7, v7, v8
	ds_bpermute_b32 v8, v3, v7
	s_waitcnt lgkmcnt(0)
	v_add_f32_e32 v7, v7, v8
	ds_bpermute_b32 v8, v4, v7
	s_waitcnt lgkmcnt(0)
	v_add_f32_e32 v7, v7, v8
	ds_bpermute_b32 v8, v6, v7
	s_and_saveexec_b64 s[2:3], vcc
	s_cbranch_execz .LBB52_8
; %bb.7:
	s_waitcnt lgkmcnt(0)
	v_add_f32_e32 v7, v7, v8
	ds_write_b32 v5, v7 offset:32
.LBB52_8:
	;; [unrolled: 21-line block ×20, first 2 shown]
	s_or_b64 exec, exec, s[2:3]
	v_cmp_eq_u32_e32 vcc, 0, v0
	s_waitcnt lgkmcnt(0)
	s_barrier
	s_and_saveexec_b64 s[2:3], vcc
	s_cbranch_execz .LBB52_46
; %bb.45:
	v_mov_b32_e32 v16, 0
	ds_read_b128 v[0:3], v16
	s_ashr_i32 s7, s6, 31
	ds_read_b128 v[4:7], v16 offset:16
	ds_read_b128 v[8:11], v16 offset:32
	;; [unrolled: 1-line block ×3, first 2 shown]
	s_lshl_b64 s[2:3], s[6:7], 2
	s_add_u32 s0, s0, s2
	s_waitcnt lgkmcnt(3)
	v_add_f32_e32 v0, 0, v0
	v_add_f32_e32 v0, v0, v1
	;; [unrolled: 1-line block ×4, first 2 shown]
	s_addc_u32 s1, s1, s3
	global_store_dword v16, v0, s[0:1]
	s_waitcnt lgkmcnt(2)
	v_add_f32_e32 v0, 0, v4
	v_add_f32_e32 v0, v0, v5
	;; [unrolled: 1-line block ×4, first 2 shown]
	global_store_dword v16, v0, s[0:1] offset:1024
	s_waitcnt lgkmcnt(1)
	v_add_f32_e32 v0, 0, v8
	v_add_f32_e32 v0, v0, v9
	;; [unrolled: 1-line block ×4, first 2 shown]
	global_store_dword v16, v0, s[0:1] offset:2048
	s_waitcnt lgkmcnt(0)
	v_add_f32_e32 v0, 0, v12
	v_add_f32_e32 v4, v0, v13
	ds_read_b128 v[0:3], v16 offset:64
	v_add_f32_e32 v4, v4, v14
	v_add_f32_e32 v4, v4, v15
	global_store_dword v16, v4, s[0:1] offset:3072
	ds_read_b128 v[4:7], v16 offset:80
	s_waitcnt lgkmcnt(1)
	v_add_f32_e32 v0, 0, v0
	v_add_f32_e32 v0, v0, v1
	;; [unrolled: 1-line block ×4, first 2 shown]
	v_mov_b32_e32 v8, 0x1000
	global_store_dword v8, v0, s[0:1]
	s_waitcnt lgkmcnt(0)
	v_add_f32_e32 v0, 0, v4
	v_add_f32_e32 v4, v0, v5
	ds_read_b128 v[0:3], v16 offset:96
	v_add_f32_e32 v4, v4, v6
	v_add_f32_e32 v4, v4, v7
	global_store_dword v8, v4, s[0:1] offset:1024
	ds_read_b128 v[4:7], v16 offset:112
	s_waitcnt lgkmcnt(1)
	v_add_f32_e32 v0, 0, v0
	v_add_f32_e32 v0, v0, v1
	;; [unrolled: 1-line block ×4, first 2 shown]
	global_store_dword v8, v0, s[0:1] offset:2048
	s_waitcnt lgkmcnt(0)
	v_add_f32_e32 v0, 0, v4
	v_add_f32_e32 v4, v0, v5
	ds_read_b128 v[0:3], v16 offset:128
	v_add_f32_e32 v4, v4, v6
	v_add_f32_e32 v4, v4, v7
	global_store_dword v8, v4, s[0:1] offset:3072
	ds_read_b128 v[4:7], v16 offset:144
	s_waitcnt lgkmcnt(1)
	v_add_f32_e32 v0, 0, v0
	v_add_f32_e32 v0, v0, v1
	;; [unrolled: 1-line block ×4, first 2 shown]
	v_mov_b32_e32 v12, 0x2000
	global_store_dword v12, v0, s[0:1]
	ds_read_b128 v[0:3], v16 offset:160
	ds_read_b128 v[8:11], v16 offset:176
	s_waitcnt lgkmcnt(2)
	v_add_f32_e32 v4, 0, v4
	v_add_f32_e32 v4, v4, v5
	;; [unrolled: 1-line block ×3, first 2 shown]
	s_waitcnt lgkmcnt(1)
	v_add_f32_e32 v0, 0, v0
	v_add_f32_e32 v0, v0, v1
	;; [unrolled: 1-line block ×5, first 2 shown]
	global_store_dword v12, v0, s[0:1] offset:2048
	s_waitcnt lgkmcnt(0)
	v_add_f32_e32 v0, 0, v8
	global_store_dword v12, v4, s[0:1] offset:1024
	v_add_f32_e32 v4, v0, v9
	ds_read_b128 v[0:3], v16 offset:192
	v_add_f32_e32 v4, v4, v10
	v_add_f32_e32 v4, v4, v11
	global_store_dword v12, v4, s[0:1] offset:3072
	ds_read_b128 v[4:7], v16 offset:208
	s_waitcnt lgkmcnt(1)
	v_add_f32_e32 v0, 0, v0
	v_add_f32_e32 v0, v0, v1
	v_add_f32_e32 v0, v0, v2
	v_add_f32_e32 v0, v0, v3
	v_mov_b32_e32 v8, 0x3000
	global_store_dword v8, v0, s[0:1]
	s_waitcnt lgkmcnt(0)
	v_add_f32_e32 v0, 0, v4
	v_add_f32_e32 v4, v0, v5
	ds_read_b128 v[0:3], v16 offset:224
	v_add_f32_e32 v4, v4, v6
	v_add_f32_e32 v4, v4, v7
	global_store_dword v8, v4, s[0:1] offset:1024
	ds_read_b128 v[4:7], v16 offset:240
	s_waitcnt lgkmcnt(1)
	v_add_f32_e32 v0, 0, v0
	v_add_f32_e32 v0, v0, v1
	v_add_f32_e32 v0, v0, v2
	v_add_f32_e32 v0, v0, v3
	global_store_dword v8, v0, s[0:1] offset:2048
	s_waitcnt lgkmcnt(0)
	v_add_f32_e32 v0, 0, v4
	v_add_f32_e32 v4, v0, v5
	ds_read_b128 v[0:3], v16 offset:256
	v_add_f32_e32 v4, v4, v6
	v_add_f32_e32 v4, v4, v7
	global_store_dword v8, v4, s[0:1] offset:3072
	ds_read_b128 v[4:7], v16 offset:272
	s_waitcnt lgkmcnt(1)
	v_add_f32_e32 v0, 0, v0
	v_add_f32_e32 v0, v0, v1
	;; [unrolled: 1-line block ×4, first 2 shown]
	v_mov_b32_e32 v17, 0x4000
	global_store_dword v17, v0, s[0:1]
	ds_read_b128 v[0:3], v16 offset:288
	ds_read_b128 v[8:11], v16 offset:304
	;; [unrolled: 1-line block ×3, first 2 shown]
	s_waitcnt lgkmcnt(3)
	v_add_f32_e32 v4, 0, v4
	v_add_f32_e32 v4, v4, v5
	s_waitcnt lgkmcnt(2)
	v_add_f32_e32 v0, 0, v0
	v_add_f32_e32 v0, v0, v1
	;; [unrolled: 1-line block ×4, first 2 shown]
	global_store_dword v17, v0, s[0:1] offset:2048
	s_waitcnt lgkmcnt(1)
	v_add_f32_e32 v0, 0, v8
	v_add_f32_e32 v0, v0, v9
	;; [unrolled: 1-line block ×4, first 2 shown]
	global_store_dword v17, v0, s[0:1] offset:3072
	s_waitcnt lgkmcnt(0)
	v_add_f32_e32 v0, 0, v12
	v_add_f32_e32 v0, v0, v13
	;; [unrolled: 1-line block ×6, first 2 shown]
	v_mov_b32_e32 v1, 0x5000
	global_store_dword v17, v4, s[0:1] offset:1024
	global_store_dword v1, v0, s[0:1]
.LBB52_46:
	s_endpgm
	.section	.rodata,"a",@progbits
	.p2align	6, 0x0
	.amdhsa_kernel _Z23fp32_router_gemm_kernelI14__hip_bfloat16Li128ELi21ELi256ELi3072EEvPfPKT_PKf
		.amdhsa_group_segment_fixed_size 336
		.amdhsa_private_segment_fixed_size 0
		.amdhsa_kernarg_size 24
		.amdhsa_user_sgpr_count 6
		.amdhsa_user_sgpr_private_segment_buffer 1
		.amdhsa_user_sgpr_dispatch_ptr 0
		.amdhsa_user_sgpr_queue_ptr 0
		.amdhsa_user_sgpr_kernarg_segment_ptr 1
		.amdhsa_user_sgpr_dispatch_id 0
		.amdhsa_user_sgpr_flat_scratch_init 0
		.amdhsa_user_sgpr_kernarg_preload_length 0
		.amdhsa_user_sgpr_kernarg_preload_offset 0
		.amdhsa_user_sgpr_private_segment_size 0
		.amdhsa_uses_dynamic_stack 0
		.amdhsa_system_sgpr_private_segment_wavefront_offset 0
		.amdhsa_system_sgpr_workgroup_id_x 1
		.amdhsa_system_sgpr_workgroup_id_y 0
		.amdhsa_system_sgpr_workgroup_id_z 0
		.amdhsa_system_sgpr_workgroup_info 0
		.amdhsa_system_vgpr_workitem_id 0
		.amdhsa_next_free_vgpr 42
		.amdhsa_next_free_sgpr 29
		.amdhsa_accum_offset 44
		.amdhsa_reserve_vcc 1
		.amdhsa_reserve_flat_scratch 0
		.amdhsa_float_round_mode_32 0
		.amdhsa_float_round_mode_16_64 0
		.amdhsa_float_denorm_mode_32 3
		.amdhsa_float_denorm_mode_16_64 3
		.amdhsa_dx10_clamp 1
		.amdhsa_ieee_mode 1
		.amdhsa_fp16_overflow 0
		.amdhsa_tg_split 0
		.amdhsa_exception_fp_ieee_invalid_op 0
		.amdhsa_exception_fp_denorm_src 0
		.amdhsa_exception_fp_ieee_div_zero 0
		.amdhsa_exception_fp_ieee_overflow 0
		.amdhsa_exception_fp_ieee_underflow 0
		.amdhsa_exception_fp_ieee_inexact 0
		.amdhsa_exception_int_div_zero 0
	.end_amdhsa_kernel
	.section	.text._Z23fp32_router_gemm_kernelI14__hip_bfloat16Li128ELi21ELi256ELi3072EEvPfPKT_PKf,"axG",@progbits,_Z23fp32_router_gemm_kernelI14__hip_bfloat16Li128ELi21ELi256ELi3072EEvPfPKT_PKf,comdat
.Lfunc_end52:
	.size	_Z23fp32_router_gemm_kernelI14__hip_bfloat16Li128ELi21ELi256ELi3072EEvPfPKT_PKf, .Lfunc_end52-_Z23fp32_router_gemm_kernelI14__hip_bfloat16Li128ELi21ELi256ELi3072EEvPfPKT_PKf
                                        ; -- End function
	.section	.AMDGPU.csdata,"",@progbits
; Kernel info:
; codeLenInByte = 6192
; NumSgprs: 33
; NumVgprs: 42
; NumAgprs: 0
; TotalNumVgprs: 42
; ScratchSize: 0
; MemoryBound: 0
; FloatMode: 240
; IeeeMode: 1
; LDSByteSize: 336 bytes/workgroup (compile time only)
; SGPRBlocks: 4
; VGPRBlocks: 5
; NumSGPRsForWavesPerEU: 33
; NumVGPRsForWavesPerEU: 42
; AccumOffset: 44
; Occupancy: 8
; WaveLimiterHint : 1
; COMPUTE_PGM_RSRC2:SCRATCH_EN: 0
; COMPUTE_PGM_RSRC2:USER_SGPR: 6
; COMPUTE_PGM_RSRC2:TRAP_HANDLER: 0
; COMPUTE_PGM_RSRC2:TGID_X_EN: 1
; COMPUTE_PGM_RSRC2:TGID_Y_EN: 0
; COMPUTE_PGM_RSRC2:TGID_Z_EN: 0
; COMPUTE_PGM_RSRC2:TIDIG_COMP_CNT: 0
; COMPUTE_PGM_RSRC3_GFX90A:ACCUM_OFFSET: 10
; COMPUTE_PGM_RSRC3_GFX90A:TG_SPLIT: 0
	.section	.text._Z23fp32_router_gemm_kernelI14__hip_bfloat16Li128ELi22ELi256ELi3072EEvPfPKT_PKf,"axG",@progbits,_Z23fp32_router_gemm_kernelI14__hip_bfloat16Li128ELi22ELi256ELi3072EEvPfPKT_PKf,comdat
	.protected	_Z23fp32_router_gemm_kernelI14__hip_bfloat16Li128ELi22ELi256ELi3072EEvPfPKT_PKf ; -- Begin function _Z23fp32_router_gemm_kernelI14__hip_bfloat16Li128ELi22ELi256ELi3072EEvPfPKT_PKf
	.globl	_Z23fp32_router_gemm_kernelI14__hip_bfloat16Li128ELi22ELi256ELi3072EEvPfPKT_PKf
	.p2align	8
	.type	_Z23fp32_router_gemm_kernelI14__hip_bfloat16Li128ELi22ELi256ELi3072EEvPfPKT_PKf,@function
_Z23fp32_router_gemm_kernelI14__hip_bfloat16Li128ELi22ELi256ELi3072EEvPfPKT_PKf: ; @_Z23fp32_router_gemm_kernelI14__hip_bfloat16Li128ELi22ELi256ELi3072EEvPfPKT_PKf
; %bb.0:
	s_load_dwordx4 s[0:3], s[4:5], 0x0
	s_load_dwordx2 s[8:9], s[4:5], 0x10
	s_mul_i32 s4, s6, 0xc00
	s_ashr_i32 s5, s4, 31
	s_lshl_b64 s[4:5], s[4:5], 2
	v_lshlrev_b32_e32 v10, 3, v0
	s_waitcnt lgkmcnt(0)
	s_add_u32 s4, s8, s4
	v_or_b32_e32 v1, 0x400, v10
	v_or_b32_e32 v12, 0x800, v10
	s_addc_u32 s5, s9, s5
	s_mov_b64 s[8:9], 0
	v_mov_b32_e32 v33, 0
	v_mov_b32_e32 v34, s3
	s_movk_i32 s7, 0x1000
	s_movk_i32 s10, 0x3000
	;; [unrolled: 1-line block ×5, first 2 shown]
	s_mov_b32 s14, 0x9000
	s_mov_b32 s15, 0xa000
	;; [unrolled: 1-line block ×16, first 2 shown]
	v_mov_b32_e32 v32, 0
	v_mov_b32_e32 v31, 0
	;; [unrolled: 1-line block ×21, first 2 shown]
.LBB53_1:                               ; =>This Inner Loop Header: Depth=1
	s_cmp_eq_u32 s8, 1
	s_cselect_b64 vcc, -1, 0
	s_cmp_eq_u32 s8, 2
	v_cndmask_b32_e32 v2, v10, v1, vcc
	s_cselect_b64 vcc, -1, 0
	v_cndmask_b32_e32 v2, v2, v12, vcc
	v_lshlrev_b32_e32 v37, 2, v2
	v_lshlrev_b32_e32 v42, 1, v2
	global_load_dwordx4 v[2:5], v37, s[4:5] offset:16
	global_load_dwordx4 v[6:9], v37, s[4:5]
	global_load_dwordx4 v[38:41], v42, s[2:3]
	v_add_co_u32_e32 v35, vcc, s2, v42
	v_addc_co_u32_e32 v36, vcc, 0, v34, vcc
	s_add_u32 s8, s8, 1
	s_addc_u32 s9, s9, 0
	s_cmp_eq_u32 s8, 3
	s_waitcnt vmcnt(0)
	v_and_b32_e32 v43, 0xffff0000, v38
	v_lshlrev_b32_e32 v42, 16, v38
	v_pk_mul_f32 v[42:43], v[6:7], v[42:43]
	v_add_f32_e32 v33, v42, v33
	v_add_f32_e32 v33, v43, v33
	v_and_b32_e32 v43, 0xffff0000, v39
	v_lshlrev_b32_e32 v42, 16, v39
	v_pk_mul_f32 v[38:39], v[8:9], v[42:43]
	v_add_f32_e32 v33, v38, v33
	v_add_f32_e32 v33, v39, v33
	v_and_b32_e32 v39, 0xffff0000, v40
	v_lshlrev_b32_e32 v38, 16, v40
	v_pk_mul_f32 v[38:39], v[2:3], v[38:39]
	v_add_f32_e32 v33, v38, v33
	v_add_f32_e32 v33, v39, v33
	v_and_b32_e32 v39, 0xffff0000, v41
	v_lshlrev_b32_e32 v38, 16, v41
	v_pk_mul_f32 v[38:39], v[4:5], v[38:39]
	v_add_f32_e32 v33, v38, v33
	v_add_co_u32_e32 v38, vcc, s7, v35
	v_add_f32_e32 v33, v39, v33
	v_addc_co_u32_e32 v39, vcc, 0, v36, vcc
	global_load_dwordx4 v[38:41], v[38:39], off offset:2048
	s_waitcnt vmcnt(0)
	v_and_b32_e32 v43, 0xffff0000, v38
	v_lshlrev_b32_e32 v42, 16, v38
	v_pk_mul_f32 v[42:43], v[6:7], v[42:43]
	v_add_f32_e32 v32, v42, v32
	v_add_f32_e32 v32, v43, v32
	v_and_b32_e32 v43, 0xffff0000, v39
	v_lshlrev_b32_e32 v42, 16, v39
	v_pk_mul_f32 v[38:39], v[8:9], v[42:43]
	v_add_f32_e32 v32, v38, v32
	v_add_f32_e32 v32, v39, v32
	v_and_b32_e32 v39, 0xffff0000, v40
	v_lshlrev_b32_e32 v38, 16, v40
	v_pk_mul_f32 v[38:39], v[2:3], v[38:39]
	v_add_f32_e32 v32, v38, v32
	v_add_f32_e32 v32, v39, v32
	v_and_b32_e32 v39, 0xffff0000, v41
	v_lshlrev_b32_e32 v38, 16, v41
	v_pk_mul_f32 v[38:39], v[4:5], v[38:39]
	v_add_f32_e32 v32, v38, v32
	v_add_co_u32_e32 v38, vcc, s10, v35
	v_add_f32_e32 v32, v39, v32
	v_addc_co_u32_e32 v39, vcc, 0, v36, vcc
	global_load_dwordx4 v[38:41], v[38:39], off
	s_waitcnt vmcnt(0)
	v_and_b32_e32 v43, 0xffff0000, v38
	v_lshlrev_b32_e32 v42, 16, v38
	v_pk_mul_f32 v[42:43], v[6:7], v[42:43]
	v_add_f32_e32 v31, v42, v31
	v_add_f32_e32 v31, v43, v31
	v_and_b32_e32 v43, 0xffff0000, v39
	v_lshlrev_b32_e32 v42, 16, v39
	v_pk_mul_f32 v[38:39], v[8:9], v[42:43]
	v_add_f32_e32 v31, v38, v31
	v_add_f32_e32 v31, v39, v31
	v_and_b32_e32 v39, 0xffff0000, v40
	v_lshlrev_b32_e32 v38, 16, v40
	v_pk_mul_f32 v[38:39], v[2:3], v[38:39]
	v_add_f32_e32 v31, v38, v31
	v_add_f32_e32 v31, v39, v31
	v_and_b32_e32 v39, 0xffff0000, v41
	v_lshlrev_b32_e32 v38, 16, v41
	v_pk_mul_f32 v[38:39], v[4:5], v[38:39]
	v_add_f32_e32 v31, v38, v31
	v_add_co_u32_e32 v38, vcc, s11, v35
	v_add_f32_e32 v31, v39, v31
	v_addc_co_u32_e32 v39, vcc, 0, v36, vcc
	global_load_dwordx4 v[38:41], v[38:39], off offset:2048
	s_waitcnt vmcnt(0)
	v_and_b32_e32 v43, 0xffff0000, v38
	v_lshlrev_b32_e32 v42, 16, v38
	v_pk_mul_f32 v[42:43], v[6:7], v[42:43]
	v_add_f32_e32 v30, v42, v30
	v_add_f32_e32 v30, v43, v30
	v_and_b32_e32 v43, 0xffff0000, v39
	v_lshlrev_b32_e32 v42, 16, v39
	v_pk_mul_f32 v[38:39], v[8:9], v[42:43]
	v_add_f32_e32 v30, v38, v30
	v_add_f32_e32 v30, v39, v30
	v_and_b32_e32 v39, 0xffff0000, v40
	v_lshlrev_b32_e32 v38, 16, v40
	v_pk_mul_f32 v[38:39], v[2:3], v[38:39]
	v_add_f32_e32 v30, v38, v30
	v_add_f32_e32 v30, v39, v30
	v_and_b32_e32 v39, 0xffff0000, v41
	v_lshlrev_b32_e32 v38, 16, v41
	v_pk_mul_f32 v[38:39], v[4:5], v[38:39]
	v_add_f32_e32 v30, v38, v30
	v_add_co_u32_e32 v38, vcc, s12, v35
	v_add_f32_e32 v30, v39, v30
	v_addc_co_u32_e32 v39, vcc, 0, v36, vcc
	global_load_dwordx4 v[38:41], v[38:39], off
	;; [unrolled: 48-line block ×10, first 2 shown]
	s_waitcnt vmcnt(0)
	v_and_b32_e32 v43, 0xffff0000, v38
	v_lshlrev_b32_e32 v42, 16, v38
	v_pk_mul_f32 v[42:43], v[6:7], v[42:43]
	v_add_f32_e32 v11, v42, v11
	v_add_f32_e32 v11, v43, v11
	v_and_b32_e32 v43, 0xffff0000, v39
	v_lshlrev_b32_e32 v42, 16, v39
	v_pk_mul_f32 v[38:39], v[8:9], v[42:43]
	v_add_f32_e32 v11, v38, v11
	v_add_f32_e32 v11, v39, v11
	;; [unrolled: 5-line block ×3, first 2 shown]
	v_and_b32_e32 v39, 0xffff0000, v41
	v_lshlrev_b32_e32 v38, 16, v41
	v_pk_mul_f32 v[38:39], v[4:5], v[38:39]
	v_add_f32_e32 v11, v38, v11
	v_add_co_u32_e32 v38, vcc, s29, v35
	v_add_f32_e32 v11, v39, v11
	v_addc_co_u32_e32 v39, vcc, 0, v36, vcc
	global_load_dwordx4 v[36:39], v[38:39], off offset:2048
	s_waitcnt vmcnt(0)
	v_and_b32_e32 v41, 0xffff0000, v36
	v_lshlrev_b32_e32 v40, 16, v36
	v_pk_mul_f32 v[6:7], v[6:7], v[40:41]
	v_add_f32_e32 v6, v6, v17
	v_add_f32_e32 v17, v7, v6
	v_and_b32_e32 v7, 0xffff0000, v37
	v_lshlrev_b32_e32 v6, 16, v37
	v_pk_mul_f32 v[6:7], v[8:9], v[6:7]
	v_add_f32_e32 v6, v6, v17
	v_add_f32_e32 v8, v7, v6
	v_and_b32_e32 v7, 0xffff0000, v38
	v_lshlrev_b32_e32 v6, 16, v38
	v_pk_mul_f32 v[2:3], v[2:3], v[6:7]
	v_add_f32_e32 v2, v2, v8
	v_add_f32_e32 v6, v3, v2
	v_and_b32_e32 v3, 0xffff0000, v39
	v_lshlrev_b32_e32 v2, 16, v39
	v_pk_mul_f32 v[2:3], v[4:5], v[2:3]
	v_add_f32_e32 v2, v2, v6
	v_add_f32_e32 v17, v3, v2
	s_cbranch_scc0 .LBB53_1
; %bb.2:
	v_mbcnt_lo_u32_b32 v1, -1, 0
	v_mbcnt_hi_u32_b32 v5, -1, v1
	v_and_b32_e32 v2, 64, v5
	v_xor_b32_e32 v1, 16, v5
	v_add_u32_e32 v6, 64, v2
	v_cmp_lt_i32_e32 vcc, v1, v6
	v_cndmask_b32_e32 v1, v5, v1, vcc
	v_lshlrev_b32_e32 v1, 2, v1
	ds_bpermute_b32 v3, v1, v33
	v_xor_b32_e32 v2, 8, v5
	v_cmp_lt_i32_e32 vcc, v2, v6
	v_cndmask_b32_e32 v2, v5, v2, vcc
	v_lshlrev_b32_e32 v2, 2, v2
	s_waitcnt lgkmcnt(0)
	v_add_f32_e32 v4, v33, v3
	ds_bpermute_b32 v7, v2, v4
	v_xor_b32_e32 v3, 4, v5
	v_cmp_lt_i32_e32 vcc, v3, v6
	v_cndmask_b32_e32 v3, v5, v3, vcc
	v_lshlrev_b32_e32 v3, 2, v3
	s_waitcnt lgkmcnt(0)
	v_add_f32_e32 v7, v4, v7
	;; [unrolled: 7-line block ×4, first 2 shown]
	ds_bpermute_b32 v8, v6, v7
	v_lshrrev_b32_e32 v5, 5, v0
	v_and_b32_e32 v9, 31, v0
	v_cmp_eq_u32_e32 vcc, 0, v9
	v_lshlrev_b32_e32 v5, 2, v5
	s_and_saveexec_b64 s[2:3], vcc
	s_cbranch_execz .LBB53_4
; %bb.3:
	s_waitcnt lgkmcnt(0)
	v_add_f32_e32 v7, v7, v8
	ds_write_b32 v5, v7
.LBB53_4:
	s_or_b64 exec, exec, s[2:3]
	ds_bpermute_b32 v7, v1, v32
	s_waitcnt lgkmcnt(0)
	v_add_f32_e32 v7, v32, v7
	ds_bpermute_b32 v8, v2, v7
	s_waitcnt lgkmcnt(0)
	v_add_f32_e32 v7, v7, v8
	ds_bpermute_b32 v8, v3, v7
	s_waitcnt lgkmcnt(0)
	v_add_f32_e32 v7, v7, v8
	ds_bpermute_b32 v8, v4, v7
	s_waitcnt lgkmcnt(0)
	v_add_f32_e32 v7, v7, v8
	ds_bpermute_b32 v8, v6, v7
	s_and_saveexec_b64 s[2:3], vcc
	s_cbranch_execz .LBB53_6
; %bb.5:
	s_waitcnt lgkmcnt(0)
	v_add_f32_e32 v7, v7, v8
	ds_write_b32 v5, v7 offset:16
.LBB53_6:
	s_or_b64 exec, exec, s[2:3]
	ds_bpermute_b32 v7, v1, v31
	s_waitcnt lgkmcnt(0)
	v_add_f32_e32 v7, v31, v7
	ds_bpermute_b32 v8, v2, v7
	s_waitcnt lgkmcnt(0)
	v_add_f32_e32 v7, v7, v8
	ds_bpermute_b32 v8, v3, v7
	s_waitcnt lgkmcnt(0)
	v_add_f32_e32 v7, v7, v8
	ds_bpermute_b32 v8, v4, v7
	s_waitcnt lgkmcnt(0)
	v_add_f32_e32 v7, v7, v8
	ds_bpermute_b32 v8, v6, v7
	s_and_saveexec_b64 s[2:3], vcc
	s_cbranch_execz .LBB53_8
; %bb.7:
	s_waitcnt lgkmcnt(0)
	v_add_f32_e32 v7, v7, v8
	ds_write_b32 v5, v7 offset:32
.LBB53_8:
	s_or_b64 exec, exec, s[2:3]
	ds_bpermute_b32 v7, v1, v30
	s_waitcnt lgkmcnt(0)
	v_add_f32_e32 v7, v30, v7
	ds_bpermute_b32 v8, v2, v7
	s_waitcnt lgkmcnt(0)
	v_add_f32_e32 v7, v7, v8
	ds_bpermute_b32 v8, v3, v7
	s_waitcnt lgkmcnt(0)
	v_add_f32_e32 v7, v7, v8
	ds_bpermute_b32 v8, v4, v7
	s_waitcnt lgkmcnt(0)
	v_add_f32_e32 v7, v7, v8
	ds_bpermute_b32 v8, v6, v7
	s_and_saveexec_b64 s[2:3], vcc
	s_cbranch_execz .LBB53_10
; %bb.9:
	s_waitcnt lgkmcnt(0)
	v_add_f32_e32 v7, v7, v8
	ds_write_b32 v5, v7 offset:48
.LBB53_10:
	s_or_b64 exec, exec, s[2:3]
	ds_bpermute_b32 v7, v1, v29
	s_waitcnt lgkmcnt(0)
	v_add_f32_e32 v7, v29, v7
	ds_bpermute_b32 v8, v2, v7
	s_waitcnt lgkmcnt(0)
	v_add_f32_e32 v7, v7, v8
	ds_bpermute_b32 v8, v3, v7
	s_waitcnt lgkmcnt(0)
	v_add_f32_e32 v7, v7, v8
	ds_bpermute_b32 v8, v4, v7
	s_waitcnt lgkmcnt(0)
	v_add_f32_e32 v7, v7, v8
	ds_bpermute_b32 v8, v6, v7
	s_and_saveexec_b64 s[2:3], vcc
	s_cbranch_execz .LBB53_12
; %bb.11:
	s_waitcnt lgkmcnt(0)
	v_add_f32_e32 v7, v7, v8
	ds_write_b32 v5, v7 offset:64
.LBB53_12:
	s_or_b64 exec, exec, s[2:3]
	ds_bpermute_b32 v7, v1, v28
	s_waitcnt lgkmcnt(0)
	v_add_f32_e32 v7, v28, v7
	ds_bpermute_b32 v8, v2, v7
	s_waitcnt lgkmcnt(0)
	v_add_f32_e32 v7, v7, v8
	ds_bpermute_b32 v8, v3, v7
	s_waitcnt lgkmcnt(0)
	v_add_f32_e32 v7, v7, v8
	ds_bpermute_b32 v8, v4, v7
	s_waitcnt lgkmcnt(0)
	v_add_f32_e32 v7, v7, v8
	ds_bpermute_b32 v8, v6, v7
	s_and_saveexec_b64 s[2:3], vcc
	s_cbranch_execz .LBB53_14
; %bb.13:
	s_waitcnt lgkmcnt(0)
	v_add_f32_e32 v7, v7, v8
	ds_write_b32 v5, v7 offset:80
.LBB53_14:
	s_or_b64 exec, exec, s[2:3]
	ds_bpermute_b32 v7, v1, v27
	s_waitcnt lgkmcnt(0)
	v_add_f32_e32 v7, v27, v7
	ds_bpermute_b32 v8, v2, v7
	s_waitcnt lgkmcnt(0)
	v_add_f32_e32 v7, v7, v8
	ds_bpermute_b32 v8, v3, v7
	s_waitcnt lgkmcnt(0)
	v_add_f32_e32 v7, v7, v8
	ds_bpermute_b32 v8, v4, v7
	s_waitcnt lgkmcnt(0)
	v_add_f32_e32 v7, v7, v8
	ds_bpermute_b32 v8, v6, v7
	s_and_saveexec_b64 s[2:3], vcc
	s_cbranch_execz .LBB53_16
; %bb.15:
	s_waitcnt lgkmcnt(0)
	v_add_f32_e32 v7, v7, v8
	ds_write_b32 v5, v7 offset:96
.LBB53_16:
	s_or_b64 exec, exec, s[2:3]
	ds_bpermute_b32 v7, v1, v26
	s_waitcnt lgkmcnt(0)
	v_add_f32_e32 v7, v26, v7
	ds_bpermute_b32 v8, v2, v7
	s_waitcnt lgkmcnt(0)
	v_add_f32_e32 v7, v7, v8
	ds_bpermute_b32 v8, v3, v7
	s_waitcnt lgkmcnt(0)
	v_add_f32_e32 v7, v7, v8
	ds_bpermute_b32 v8, v4, v7
	s_waitcnt lgkmcnt(0)
	v_add_f32_e32 v7, v7, v8
	ds_bpermute_b32 v8, v6, v7
	s_and_saveexec_b64 s[2:3], vcc
	s_cbranch_execz .LBB53_18
; %bb.17:
	s_waitcnt lgkmcnt(0)
	v_add_f32_e32 v7, v7, v8
	ds_write_b32 v5, v7 offset:112
.LBB53_18:
	s_or_b64 exec, exec, s[2:3]
	ds_bpermute_b32 v7, v1, v25
	s_waitcnt lgkmcnt(0)
	v_add_f32_e32 v7, v25, v7
	ds_bpermute_b32 v8, v2, v7
	s_waitcnt lgkmcnt(0)
	v_add_f32_e32 v7, v7, v8
	ds_bpermute_b32 v8, v3, v7
	s_waitcnt lgkmcnt(0)
	v_add_f32_e32 v7, v7, v8
	ds_bpermute_b32 v8, v4, v7
	s_waitcnt lgkmcnt(0)
	v_add_f32_e32 v7, v7, v8
	ds_bpermute_b32 v8, v6, v7
	s_and_saveexec_b64 s[2:3], vcc
	s_cbranch_execz .LBB53_20
; %bb.19:
	s_waitcnt lgkmcnt(0)
	v_add_f32_e32 v7, v7, v8
	ds_write_b32 v5, v7 offset:128
.LBB53_20:
	s_or_b64 exec, exec, s[2:3]
	ds_bpermute_b32 v7, v1, v24
	s_waitcnt lgkmcnt(0)
	v_add_f32_e32 v7, v24, v7
	ds_bpermute_b32 v8, v2, v7
	s_waitcnt lgkmcnt(0)
	v_add_f32_e32 v7, v7, v8
	ds_bpermute_b32 v8, v3, v7
	s_waitcnt lgkmcnt(0)
	v_add_f32_e32 v7, v7, v8
	ds_bpermute_b32 v8, v4, v7
	s_waitcnt lgkmcnt(0)
	v_add_f32_e32 v7, v7, v8
	ds_bpermute_b32 v8, v6, v7
	s_and_saveexec_b64 s[2:3], vcc
	s_cbranch_execz .LBB53_22
; %bb.21:
	s_waitcnt lgkmcnt(0)
	v_add_f32_e32 v7, v7, v8
	ds_write_b32 v5, v7 offset:144
.LBB53_22:
	s_or_b64 exec, exec, s[2:3]
	ds_bpermute_b32 v7, v1, v23
	s_waitcnt lgkmcnt(0)
	v_add_f32_e32 v7, v23, v7
	ds_bpermute_b32 v8, v2, v7
	s_waitcnt lgkmcnt(0)
	v_add_f32_e32 v7, v7, v8
	ds_bpermute_b32 v8, v3, v7
	s_waitcnt lgkmcnt(0)
	v_add_f32_e32 v7, v7, v8
	ds_bpermute_b32 v8, v4, v7
	s_waitcnt lgkmcnt(0)
	v_add_f32_e32 v7, v7, v8
	ds_bpermute_b32 v8, v6, v7
	s_and_saveexec_b64 s[2:3], vcc
	s_cbranch_execz .LBB53_24
; %bb.23:
	s_waitcnt lgkmcnt(0)
	v_add_f32_e32 v7, v7, v8
	ds_write_b32 v5, v7 offset:160
.LBB53_24:
	s_or_b64 exec, exec, s[2:3]
	ds_bpermute_b32 v7, v1, v22
	s_waitcnt lgkmcnt(0)
	v_add_f32_e32 v7, v22, v7
	ds_bpermute_b32 v8, v2, v7
	s_waitcnt lgkmcnt(0)
	v_add_f32_e32 v7, v7, v8
	ds_bpermute_b32 v8, v3, v7
	s_waitcnt lgkmcnt(0)
	v_add_f32_e32 v7, v7, v8
	ds_bpermute_b32 v8, v4, v7
	s_waitcnt lgkmcnt(0)
	v_add_f32_e32 v7, v7, v8
	ds_bpermute_b32 v8, v6, v7
	s_and_saveexec_b64 s[2:3], vcc
	s_cbranch_execz .LBB53_26
; %bb.25:
	s_waitcnt lgkmcnt(0)
	v_add_f32_e32 v7, v7, v8
	ds_write_b32 v5, v7 offset:176
.LBB53_26:
	s_or_b64 exec, exec, s[2:3]
	ds_bpermute_b32 v7, v1, v21
	s_waitcnt lgkmcnt(0)
	v_add_f32_e32 v7, v21, v7
	ds_bpermute_b32 v8, v2, v7
	s_waitcnt lgkmcnt(0)
	v_add_f32_e32 v7, v7, v8
	ds_bpermute_b32 v8, v3, v7
	s_waitcnt lgkmcnt(0)
	v_add_f32_e32 v7, v7, v8
	ds_bpermute_b32 v8, v4, v7
	s_waitcnt lgkmcnt(0)
	v_add_f32_e32 v7, v7, v8
	ds_bpermute_b32 v8, v6, v7
	s_and_saveexec_b64 s[2:3], vcc
	s_cbranch_execz .LBB53_28
; %bb.27:
	s_waitcnt lgkmcnt(0)
	v_add_f32_e32 v7, v7, v8
	ds_write_b32 v5, v7 offset:192
.LBB53_28:
	s_or_b64 exec, exec, s[2:3]
	ds_bpermute_b32 v7, v1, v20
	s_waitcnt lgkmcnt(0)
	v_add_f32_e32 v7, v20, v7
	ds_bpermute_b32 v8, v2, v7
	s_waitcnt lgkmcnt(0)
	v_add_f32_e32 v7, v7, v8
	ds_bpermute_b32 v8, v3, v7
	s_waitcnt lgkmcnt(0)
	v_add_f32_e32 v7, v7, v8
	ds_bpermute_b32 v8, v4, v7
	s_waitcnt lgkmcnt(0)
	v_add_f32_e32 v7, v7, v8
	ds_bpermute_b32 v8, v6, v7
	s_and_saveexec_b64 s[2:3], vcc
	s_cbranch_execz .LBB53_30
; %bb.29:
	s_waitcnt lgkmcnt(0)
	v_add_f32_e32 v7, v7, v8
	ds_write_b32 v5, v7 offset:208
.LBB53_30:
	s_or_b64 exec, exec, s[2:3]
	ds_bpermute_b32 v7, v1, v19
	s_waitcnt lgkmcnt(0)
	v_add_f32_e32 v7, v19, v7
	ds_bpermute_b32 v8, v2, v7
	s_waitcnt lgkmcnt(0)
	v_add_f32_e32 v7, v7, v8
	ds_bpermute_b32 v8, v3, v7
	s_waitcnt lgkmcnt(0)
	v_add_f32_e32 v7, v7, v8
	ds_bpermute_b32 v8, v4, v7
	s_waitcnt lgkmcnt(0)
	v_add_f32_e32 v7, v7, v8
	ds_bpermute_b32 v8, v6, v7
	s_and_saveexec_b64 s[2:3], vcc
	s_cbranch_execz .LBB53_32
; %bb.31:
	s_waitcnt lgkmcnt(0)
	v_add_f32_e32 v7, v7, v8
	ds_write_b32 v5, v7 offset:224
.LBB53_32:
	s_or_b64 exec, exec, s[2:3]
	ds_bpermute_b32 v7, v1, v18
	s_waitcnt lgkmcnt(0)
	v_add_f32_e32 v7, v18, v7
	ds_bpermute_b32 v8, v2, v7
	s_waitcnt lgkmcnt(0)
	v_add_f32_e32 v7, v7, v8
	ds_bpermute_b32 v8, v3, v7
	s_waitcnt lgkmcnt(0)
	v_add_f32_e32 v7, v7, v8
	ds_bpermute_b32 v8, v4, v7
	s_waitcnt lgkmcnt(0)
	v_add_f32_e32 v7, v7, v8
	ds_bpermute_b32 v8, v6, v7
	s_and_saveexec_b64 s[2:3], vcc
	s_cbranch_execz .LBB53_34
; %bb.33:
	s_waitcnt lgkmcnt(0)
	v_add_f32_e32 v7, v7, v8
	ds_write_b32 v5, v7 offset:240
.LBB53_34:
	s_or_b64 exec, exec, s[2:3]
	ds_bpermute_b32 v7, v1, v16
	s_waitcnt lgkmcnt(0)
	v_add_f32_e32 v7, v16, v7
	ds_bpermute_b32 v8, v2, v7
	s_waitcnt lgkmcnt(0)
	v_add_f32_e32 v7, v7, v8
	ds_bpermute_b32 v8, v3, v7
	s_waitcnt lgkmcnt(0)
	v_add_f32_e32 v7, v7, v8
	ds_bpermute_b32 v8, v4, v7
	s_waitcnt lgkmcnt(0)
	v_add_f32_e32 v7, v7, v8
	ds_bpermute_b32 v8, v6, v7
	s_and_saveexec_b64 s[2:3], vcc
	s_cbranch_execz .LBB53_36
; %bb.35:
	s_waitcnt lgkmcnt(0)
	v_add_f32_e32 v7, v7, v8
	ds_write_b32 v5, v7 offset:256
.LBB53_36:
	s_or_b64 exec, exec, s[2:3]
	ds_bpermute_b32 v7, v1, v15
	s_waitcnt lgkmcnt(0)
	v_add_f32_e32 v7, v15, v7
	ds_bpermute_b32 v8, v2, v7
	s_waitcnt lgkmcnt(0)
	v_add_f32_e32 v7, v7, v8
	ds_bpermute_b32 v8, v3, v7
	s_waitcnt lgkmcnt(0)
	v_add_f32_e32 v7, v7, v8
	ds_bpermute_b32 v8, v4, v7
	s_waitcnt lgkmcnt(0)
	v_add_f32_e32 v7, v7, v8
	ds_bpermute_b32 v8, v6, v7
	s_and_saveexec_b64 s[2:3], vcc
	s_cbranch_execz .LBB53_38
; %bb.37:
	s_waitcnt lgkmcnt(0)
	v_add_f32_e32 v7, v7, v8
	ds_write_b32 v5, v7 offset:272
.LBB53_38:
	s_or_b64 exec, exec, s[2:3]
	ds_bpermute_b32 v7, v1, v14
	s_waitcnt lgkmcnt(0)
	v_add_f32_e32 v7, v14, v7
	ds_bpermute_b32 v8, v2, v7
	s_waitcnt lgkmcnt(0)
	v_add_f32_e32 v7, v7, v8
	ds_bpermute_b32 v8, v3, v7
	s_waitcnt lgkmcnt(0)
	v_add_f32_e32 v7, v7, v8
	ds_bpermute_b32 v8, v4, v7
	s_waitcnt lgkmcnt(0)
	v_add_f32_e32 v7, v7, v8
	ds_bpermute_b32 v8, v6, v7
	s_and_saveexec_b64 s[2:3], vcc
	s_cbranch_execz .LBB53_40
; %bb.39:
	s_waitcnt lgkmcnt(0)
	v_add_f32_e32 v7, v7, v8
	ds_write_b32 v5, v7 offset:288
.LBB53_40:
	s_or_b64 exec, exec, s[2:3]
	ds_bpermute_b32 v7, v1, v13
	s_waitcnt lgkmcnt(0)
	v_add_f32_e32 v7, v13, v7
	ds_bpermute_b32 v8, v2, v7
	s_waitcnt lgkmcnt(0)
	v_add_f32_e32 v7, v7, v8
	ds_bpermute_b32 v8, v3, v7
	s_waitcnt lgkmcnt(0)
	v_add_f32_e32 v7, v7, v8
	ds_bpermute_b32 v8, v4, v7
	s_waitcnt lgkmcnt(0)
	v_add_f32_e32 v7, v7, v8
	ds_bpermute_b32 v8, v6, v7
	s_and_saveexec_b64 s[2:3], vcc
	s_cbranch_execz .LBB53_42
; %bb.41:
	s_waitcnt lgkmcnt(0)
	v_add_f32_e32 v7, v7, v8
	ds_write_b32 v5, v7 offset:304
.LBB53_42:
	s_or_b64 exec, exec, s[2:3]
	ds_bpermute_b32 v7, v1, v11
	s_waitcnt lgkmcnt(0)
	v_add_f32_e32 v7, v11, v7
	ds_bpermute_b32 v8, v2, v7
	s_waitcnt lgkmcnt(0)
	v_add_f32_e32 v7, v7, v8
	ds_bpermute_b32 v8, v3, v7
	s_waitcnt lgkmcnt(0)
	v_add_f32_e32 v7, v7, v8
	ds_bpermute_b32 v8, v4, v7
	s_waitcnt lgkmcnt(0)
	v_add_f32_e32 v7, v7, v8
	ds_bpermute_b32 v8, v6, v7
	s_and_saveexec_b64 s[2:3], vcc
	s_cbranch_execz .LBB53_44
; %bb.43:
	s_waitcnt lgkmcnt(0)
	v_add_f32_e32 v7, v7, v8
	ds_write_b32 v5, v7 offset:320
.LBB53_44:
	s_or_b64 exec, exec, s[2:3]
	ds_bpermute_b32 v1, v1, v17
	s_waitcnt lgkmcnt(0)
	v_add_f32_e32 v1, v17, v1
	ds_bpermute_b32 v2, v2, v1
	s_waitcnt lgkmcnt(0)
	v_add_f32_e32 v1, v1, v2
	ds_bpermute_b32 v2, v3, v1
	s_waitcnt lgkmcnt(0)
	v_add_f32_e32 v1, v1, v2
	ds_bpermute_b32 v2, v4, v1
	s_waitcnt lgkmcnt(0)
	v_add_f32_e32 v1, v1, v2
	ds_bpermute_b32 v2, v6, v1
	s_and_saveexec_b64 s[2:3], vcc
	s_cbranch_execz .LBB53_46
; %bb.45:
	s_waitcnt lgkmcnt(0)
	v_add_f32_e32 v1, v1, v2
	ds_write_b32 v5, v1 offset:336
.LBB53_46:
	s_or_b64 exec, exec, s[2:3]
	v_cmp_eq_u32_e32 vcc, 0, v0
	s_waitcnt lgkmcnt(0)
	s_barrier
	s_and_saveexec_b64 s[2:3], vcc
	s_cbranch_execz .LBB53_48
; %bb.47:
	v_mov_b32_e32 v16, 0
	ds_read_b128 v[0:3], v16
	s_ashr_i32 s7, s6, 31
	ds_read_b128 v[4:7], v16 offset:16
	ds_read_b128 v[8:11], v16 offset:32
	;; [unrolled: 1-line block ×3, first 2 shown]
	s_lshl_b64 s[2:3], s[6:7], 2
	s_add_u32 s0, s0, s2
	s_waitcnt lgkmcnt(3)
	v_add_f32_e32 v0, 0, v0
	v_add_f32_e32 v0, v0, v1
	;; [unrolled: 1-line block ×4, first 2 shown]
	s_addc_u32 s1, s1, s3
	global_store_dword v16, v0, s[0:1]
	s_waitcnt lgkmcnt(2)
	v_add_f32_e32 v0, 0, v4
	v_add_f32_e32 v0, v0, v5
	;; [unrolled: 1-line block ×4, first 2 shown]
	global_store_dword v16, v0, s[0:1] offset:1024
	s_waitcnt lgkmcnt(1)
	v_add_f32_e32 v0, 0, v8
	v_add_f32_e32 v0, v0, v9
	;; [unrolled: 1-line block ×4, first 2 shown]
	global_store_dword v16, v0, s[0:1] offset:2048
	s_waitcnt lgkmcnt(0)
	v_add_f32_e32 v0, 0, v12
	v_add_f32_e32 v4, v0, v13
	ds_read_b128 v[0:3], v16 offset:64
	v_add_f32_e32 v4, v4, v14
	v_add_f32_e32 v4, v4, v15
	global_store_dword v16, v4, s[0:1] offset:3072
	ds_read_b128 v[4:7], v16 offset:80
	s_waitcnt lgkmcnt(1)
	v_add_f32_e32 v0, 0, v0
	v_add_f32_e32 v0, v0, v1
	;; [unrolled: 1-line block ×4, first 2 shown]
	v_mov_b32_e32 v8, 0x1000
	global_store_dword v8, v0, s[0:1]
	s_waitcnt lgkmcnt(0)
	v_add_f32_e32 v0, 0, v4
	v_add_f32_e32 v4, v0, v5
	ds_read_b128 v[0:3], v16 offset:96
	v_add_f32_e32 v4, v4, v6
	v_add_f32_e32 v4, v4, v7
	global_store_dword v8, v4, s[0:1] offset:1024
	ds_read_b128 v[4:7], v16 offset:112
	s_waitcnt lgkmcnt(1)
	v_add_f32_e32 v0, 0, v0
	v_add_f32_e32 v0, v0, v1
	;; [unrolled: 1-line block ×4, first 2 shown]
	global_store_dword v8, v0, s[0:1] offset:2048
	s_waitcnt lgkmcnt(0)
	v_add_f32_e32 v0, 0, v4
	v_add_f32_e32 v4, v0, v5
	ds_read_b128 v[0:3], v16 offset:128
	v_add_f32_e32 v4, v4, v6
	v_add_f32_e32 v4, v4, v7
	global_store_dword v8, v4, s[0:1] offset:3072
	ds_read_b128 v[4:7], v16 offset:144
	s_waitcnt lgkmcnt(1)
	v_add_f32_e32 v0, 0, v0
	v_add_f32_e32 v0, v0, v1
	;; [unrolled: 1-line block ×4, first 2 shown]
	v_mov_b32_e32 v12, 0x2000
	global_store_dword v12, v0, s[0:1]
	ds_read_b128 v[0:3], v16 offset:160
	ds_read_b128 v[8:11], v16 offset:176
	s_waitcnt lgkmcnt(2)
	v_add_f32_e32 v4, 0, v4
	v_add_f32_e32 v4, v4, v5
	;; [unrolled: 1-line block ×3, first 2 shown]
	s_waitcnt lgkmcnt(1)
	v_add_f32_e32 v0, 0, v0
	v_add_f32_e32 v0, v0, v1
	;; [unrolled: 1-line block ×5, first 2 shown]
	global_store_dword v12, v0, s[0:1] offset:2048
	s_waitcnt lgkmcnt(0)
	v_add_f32_e32 v0, 0, v8
	global_store_dword v12, v4, s[0:1] offset:1024
	v_add_f32_e32 v4, v0, v9
	ds_read_b128 v[0:3], v16 offset:192
	v_add_f32_e32 v4, v4, v10
	v_add_f32_e32 v4, v4, v11
	global_store_dword v12, v4, s[0:1] offset:3072
	ds_read_b128 v[4:7], v16 offset:208
	s_waitcnt lgkmcnt(1)
	v_add_f32_e32 v0, 0, v0
	v_add_f32_e32 v0, v0, v1
	;; [unrolled: 1-line block ×4, first 2 shown]
	v_mov_b32_e32 v8, 0x3000
	global_store_dword v8, v0, s[0:1]
	s_waitcnt lgkmcnt(0)
	v_add_f32_e32 v0, 0, v4
	v_add_f32_e32 v4, v0, v5
	ds_read_b128 v[0:3], v16 offset:224
	v_add_f32_e32 v4, v4, v6
	v_add_f32_e32 v4, v4, v7
	global_store_dword v8, v4, s[0:1] offset:1024
	ds_read_b128 v[4:7], v16 offset:240
	s_waitcnt lgkmcnt(1)
	v_add_f32_e32 v0, 0, v0
	v_add_f32_e32 v0, v0, v1
	v_add_f32_e32 v0, v0, v2
	v_add_f32_e32 v0, v0, v3
	global_store_dword v8, v0, s[0:1] offset:2048
	s_waitcnt lgkmcnt(0)
	v_add_f32_e32 v0, 0, v4
	v_add_f32_e32 v4, v0, v5
	ds_read_b128 v[0:3], v16 offset:256
	v_add_f32_e32 v4, v4, v6
	v_add_f32_e32 v4, v4, v7
	global_store_dword v8, v4, s[0:1] offset:3072
	ds_read_b128 v[4:7], v16 offset:272
	s_waitcnt lgkmcnt(1)
	v_add_f32_e32 v0, 0, v0
	v_add_f32_e32 v0, v0, v1
	;; [unrolled: 1-line block ×4, first 2 shown]
	v_mov_b32_e32 v12, 0x4000
	global_store_dword v12, v0, s[0:1]
	ds_read_b128 v[0:3], v16 offset:288
	ds_read_b128 v[8:11], v16 offset:304
	s_waitcnt lgkmcnt(2)
	v_add_f32_e32 v4, 0, v4
	v_add_f32_e32 v4, v4, v5
	;; [unrolled: 1-line block ×3, first 2 shown]
	s_waitcnt lgkmcnt(1)
	v_add_f32_e32 v0, 0, v0
	v_add_f32_e32 v0, v0, v1
	;; [unrolled: 1-line block ×5, first 2 shown]
	global_store_dword v12, v0, s[0:1] offset:2048
	s_waitcnt lgkmcnt(0)
	v_add_f32_e32 v0, 0, v8
	global_store_dword v12, v4, s[0:1] offset:1024
	v_add_f32_e32 v4, v0, v9
	ds_read_b128 v[0:3], v16 offset:320
	v_add_f32_e32 v4, v4, v10
	v_add_f32_e32 v4, v4, v11
	global_store_dword v12, v4, s[0:1] offset:3072
	ds_read_b128 v[4:7], v16 offset:336
	s_waitcnt lgkmcnt(1)
	v_add_f32_e32 v0, 0, v0
	v_add_f32_e32 v0, v0, v1
	;; [unrolled: 1-line block ×4, first 2 shown]
	v_mov_b32_e32 v1, 0x5000
	global_store_dword v1, v0, s[0:1]
	s_waitcnt lgkmcnt(0)
	v_add_f32_e32 v0, 0, v4
	v_add_f32_e32 v0, v0, v5
	;; [unrolled: 1-line block ×4, first 2 shown]
	global_store_dword v1, v0, s[0:1] offset:1024
.LBB53_48:
	s_endpgm
	.section	.rodata,"a",@progbits
	.p2align	6, 0x0
	.amdhsa_kernel _Z23fp32_router_gemm_kernelI14__hip_bfloat16Li128ELi22ELi256ELi3072EEvPfPKT_PKf
		.amdhsa_group_segment_fixed_size 352
		.amdhsa_private_segment_fixed_size 0
		.amdhsa_kernarg_size 24
		.amdhsa_user_sgpr_count 6
		.amdhsa_user_sgpr_private_segment_buffer 1
		.amdhsa_user_sgpr_dispatch_ptr 0
		.amdhsa_user_sgpr_queue_ptr 0
		.amdhsa_user_sgpr_kernarg_segment_ptr 1
		.amdhsa_user_sgpr_dispatch_id 0
		.amdhsa_user_sgpr_flat_scratch_init 0
		.amdhsa_user_sgpr_kernarg_preload_length 0
		.amdhsa_user_sgpr_kernarg_preload_offset 0
		.amdhsa_user_sgpr_private_segment_size 0
		.amdhsa_uses_dynamic_stack 0
		.amdhsa_system_sgpr_private_segment_wavefront_offset 0
		.amdhsa_system_sgpr_workgroup_id_x 1
		.amdhsa_system_sgpr_workgroup_id_y 0
		.amdhsa_system_sgpr_workgroup_id_z 0
		.amdhsa_system_sgpr_workgroup_info 0
		.amdhsa_system_vgpr_workitem_id 0
		.amdhsa_next_free_vgpr 44
		.amdhsa_next_free_sgpr 30
		.amdhsa_accum_offset 44
		.amdhsa_reserve_vcc 1
		.amdhsa_reserve_flat_scratch 0
		.amdhsa_float_round_mode_32 0
		.amdhsa_float_round_mode_16_64 0
		.amdhsa_float_denorm_mode_32 3
		.amdhsa_float_denorm_mode_16_64 3
		.amdhsa_dx10_clamp 1
		.amdhsa_ieee_mode 1
		.amdhsa_fp16_overflow 0
		.amdhsa_tg_split 0
		.amdhsa_exception_fp_ieee_invalid_op 0
		.amdhsa_exception_fp_denorm_src 0
		.amdhsa_exception_fp_ieee_div_zero 0
		.amdhsa_exception_fp_ieee_overflow 0
		.amdhsa_exception_fp_ieee_underflow 0
		.amdhsa_exception_fp_ieee_inexact 0
		.amdhsa_exception_int_div_zero 0
	.end_amdhsa_kernel
	.section	.text._Z23fp32_router_gemm_kernelI14__hip_bfloat16Li128ELi22ELi256ELi3072EEvPfPKT_PKf,"axG",@progbits,_Z23fp32_router_gemm_kernelI14__hip_bfloat16Li128ELi22ELi256ELi3072EEvPfPKT_PKf,comdat
.Lfunc_end53:
	.size	_Z23fp32_router_gemm_kernelI14__hip_bfloat16Li128ELi22ELi256ELi3072EEvPfPKT_PKf, .Lfunc_end53-_Z23fp32_router_gemm_kernelI14__hip_bfloat16Li128ELi22ELi256ELi3072EEvPfPKT_PKf
                                        ; -- End function
	.section	.AMDGPU.csdata,"",@progbits
; Kernel info:
; codeLenInByte = 6472
; NumSgprs: 34
; NumVgprs: 44
; NumAgprs: 0
; TotalNumVgprs: 44
; ScratchSize: 0
; MemoryBound: 0
; FloatMode: 240
; IeeeMode: 1
; LDSByteSize: 352 bytes/workgroup (compile time only)
; SGPRBlocks: 4
; VGPRBlocks: 5
; NumSGPRsForWavesPerEU: 34
; NumVGPRsForWavesPerEU: 44
; AccumOffset: 44
; Occupancy: 8
; WaveLimiterHint : 1
; COMPUTE_PGM_RSRC2:SCRATCH_EN: 0
; COMPUTE_PGM_RSRC2:USER_SGPR: 6
; COMPUTE_PGM_RSRC2:TRAP_HANDLER: 0
; COMPUTE_PGM_RSRC2:TGID_X_EN: 1
; COMPUTE_PGM_RSRC2:TGID_Y_EN: 0
; COMPUTE_PGM_RSRC2:TGID_Z_EN: 0
; COMPUTE_PGM_RSRC2:TIDIG_COMP_CNT: 0
; COMPUTE_PGM_RSRC3_GFX90A:ACCUM_OFFSET: 10
; COMPUTE_PGM_RSRC3_GFX90A:TG_SPLIT: 0
	.section	.text._Z23fp32_router_gemm_kernelI14__hip_bfloat16Li128ELi23ELi256ELi3072EEvPfPKT_PKf,"axG",@progbits,_Z23fp32_router_gemm_kernelI14__hip_bfloat16Li128ELi23ELi256ELi3072EEvPfPKT_PKf,comdat
	.protected	_Z23fp32_router_gemm_kernelI14__hip_bfloat16Li128ELi23ELi256ELi3072EEvPfPKT_PKf ; -- Begin function _Z23fp32_router_gemm_kernelI14__hip_bfloat16Li128ELi23ELi256ELi3072EEvPfPKT_PKf
	.globl	_Z23fp32_router_gemm_kernelI14__hip_bfloat16Li128ELi23ELi256ELi3072EEvPfPKT_PKf
	.p2align	8
	.type	_Z23fp32_router_gemm_kernelI14__hip_bfloat16Li128ELi23ELi256ELi3072EEvPfPKT_PKf,@function
_Z23fp32_router_gemm_kernelI14__hip_bfloat16Li128ELi23ELi256ELi3072EEvPfPKT_PKf: ; @_Z23fp32_router_gemm_kernelI14__hip_bfloat16Li128ELi23ELi256ELi3072EEvPfPKT_PKf
; %bb.0:
	s_load_dwordx4 s[0:3], s[4:5], 0x0
	s_load_dwordx2 s[8:9], s[4:5], 0x10
	s_mul_i32 s4, s6, 0xc00
	s_ashr_i32 s5, s4, 31
	s_lshl_b64 s[4:5], s[4:5], 2
	v_lshlrev_b32_e32 v10, 3, v0
	s_waitcnt lgkmcnt(0)
	s_add_u32 s4, s8, s4
	v_or_b32_e32 v1, 0x400, v10
	v_or_b32_e32 v12, 0x800, v10
	s_addc_u32 s5, s9, s5
	s_mov_b64 s[8:9], 0
	v_mov_b32_e32 v34, 0
	v_mov_b32_e32 v35, s3
	s_movk_i32 s7, 0x1000
	s_movk_i32 s10, 0x3000
	;; [unrolled: 1-line block ×5, first 2 shown]
	s_mov_b32 s14, 0x9000
	s_mov_b32 s15, 0xa000
	;; [unrolled: 1-line block ×17, first 2 shown]
	v_mov_b32_e32 v33, 0
	v_mov_b32_e32 v32, 0
	;; [unrolled: 1-line block ×22, first 2 shown]
.LBB54_1:                               ; =>This Inner Loop Header: Depth=1
	s_cmp_eq_u32 s8, 1
	s_cselect_b64 vcc, -1, 0
	s_cmp_eq_u32 s8, 2
	v_cndmask_b32_e32 v2, v10, v1, vcc
	s_cselect_b64 vcc, -1, 0
	v_cndmask_b32_e32 v2, v2, v12, vcc
	v_lshlrev_b32_e32 v42, 2, v2
	v_lshlrev_b32_e32 v43, 1, v2
	global_load_dwordx4 v[2:5], v42, s[4:5] offset:16
	global_load_dwordx4 v[6:9], v42, s[4:5]
	global_load_dwordx4 v[38:41], v43, s[2:3]
	v_add_co_u32_e32 v36, vcc, s2, v43
	v_addc_co_u32_e32 v37, vcc, 0, v35, vcc
	s_add_u32 s8, s8, 1
	s_addc_u32 s9, s9, 0
	s_cmp_eq_u32 s8, 3
	s_waitcnt vmcnt(0)
	v_and_b32_e32 v43, 0xffff0000, v38
	v_lshlrev_b32_e32 v42, 16, v38
	v_pk_mul_f32 v[42:43], v[6:7], v[42:43]
	v_add_f32_e32 v34, v42, v34
	v_add_f32_e32 v34, v43, v34
	v_and_b32_e32 v43, 0xffff0000, v39
	v_lshlrev_b32_e32 v42, 16, v39
	v_pk_mul_f32 v[38:39], v[8:9], v[42:43]
	v_add_f32_e32 v34, v38, v34
	v_add_f32_e32 v34, v39, v34
	v_and_b32_e32 v39, 0xffff0000, v40
	v_lshlrev_b32_e32 v38, 16, v40
	v_pk_mul_f32 v[38:39], v[2:3], v[38:39]
	v_add_f32_e32 v34, v38, v34
	v_add_f32_e32 v34, v39, v34
	v_and_b32_e32 v39, 0xffff0000, v41
	v_lshlrev_b32_e32 v38, 16, v41
	v_pk_mul_f32 v[38:39], v[4:5], v[38:39]
	v_add_f32_e32 v34, v38, v34
	v_add_co_u32_e32 v38, vcc, s7, v36
	v_add_f32_e32 v34, v39, v34
	v_addc_co_u32_e32 v39, vcc, 0, v37, vcc
	global_load_dwordx4 v[38:41], v[38:39], off offset:2048
	s_waitcnt vmcnt(0)
	v_and_b32_e32 v43, 0xffff0000, v38
	v_lshlrev_b32_e32 v42, 16, v38
	v_pk_mul_f32 v[42:43], v[6:7], v[42:43]
	v_add_f32_e32 v33, v42, v33
	v_add_f32_e32 v33, v43, v33
	v_and_b32_e32 v43, 0xffff0000, v39
	v_lshlrev_b32_e32 v42, 16, v39
	v_pk_mul_f32 v[38:39], v[8:9], v[42:43]
	v_add_f32_e32 v33, v38, v33
	v_add_f32_e32 v33, v39, v33
	v_and_b32_e32 v39, 0xffff0000, v40
	v_lshlrev_b32_e32 v38, 16, v40
	v_pk_mul_f32 v[38:39], v[2:3], v[38:39]
	v_add_f32_e32 v33, v38, v33
	v_add_f32_e32 v33, v39, v33
	v_and_b32_e32 v39, 0xffff0000, v41
	v_lshlrev_b32_e32 v38, 16, v41
	v_pk_mul_f32 v[38:39], v[4:5], v[38:39]
	v_add_f32_e32 v33, v38, v33
	v_add_co_u32_e32 v38, vcc, s10, v36
	v_add_f32_e32 v33, v39, v33
	v_addc_co_u32_e32 v39, vcc, 0, v37, vcc
	global_load_dwordx4 v[38:41], v[38:39], off
	s_waitcnt vmcnt(0)
	v_and_b32_e32 v43, 0xffff0000, v38
	v_lshlrev_b32_e32 v42, 16, v38
	v_pk_mul_f32 v[42:43], v[6:7], v[42:43]
	v_add_f32_e32 v32, v42, v32
	v_add_f32_e32 v32, v43, v32
	v_and_b32_e32 v43, 0xffff0000, v39
	v_lshlrev_b32_e32 v42, 16, v39
	v_pk_mul_f32 v[38:39], v[8:9], v[42:43]
	v_add_f32_e32 v32, v38, v32
	v_add_f32_e32 v32, v39, v32
	v_and_b32_e32 v39, 0xffff0000, v40
	v_lshlrev_b32_e32 v38, 16, v40
	v_pk_mul_f32 v[38:39], v[2:3], v[38:39]
	v_add_f32_e32 v32, v38, v32
	v_add_f32_e32 v32, v39, v32
	v_and_b32_e32 v39, 0xffff0000, v41
	v_lshlrev_b32_e32 v38, 16, v41
	v_pk_mul_f32 v[38:39], v[4:5], v[38:39]
	v_add_f32_e32 v32, v38, v32
	v_add_co_u32_e32 v38, vcc, s11, v36
	v_add_f32_e32 v32, v39, v32
	v_addc_co_u32_e32 v39, vcc, 0, v37, vcc
	global_load_dwordx4 v[38:41], v[38:39], off offset:2048
	s_waitcnt vmcnt(0)
	v_and_b32_e32 v43, 0xffff0000, v38
	v_lshlrev_b32_e32 v42, 16, v38
	v_pk_mul_f32 v[42:43], v[6:7], v[42:43]
	v_add_f32_e32 v31, v42, v31
	v_add_f32_e32 v31, v43, v31
	v_and_b32_e32 v43, 0xffff0000, v39
	v_lshlrev_b32_e32 v42, 16, v39
	v_pk_mul_f32 v[38:39], v[8:9], v[42:43]
	v_add_f32_e32 v31, v38, v31
	v_add_f32_e32 v31, v39, v31
	v_and_b32_e32 v39, 0xffff0000, v40
	v_lshlrev_b32_e32 v38, 16, v40
	v_pk_mul_f32 v[38:39], v[2:3], v[38:39]
	v_add_f32_e32 v31, v38, v31
	v_add_f32_e32 v31, v39, v31
	v_and_b32_e32 v39, 0xffff0000, v41
	v_lshlrev_b32_e32 v38, 16, v41
	v_pk_mul_f32 v[38:39], v[4:5], v[38:39]
	v_add_f32_e32 v31, v38, v31
	v_add_co_u32_e32 v38, vcc, s12, v36
	v_add_f32_e32 v31, v39, v31
	v_addc_co_u32_e32 v39, vcc, 0, v37, vcc
	global_load_dwordx4 v[38:41], v[38:39], off
	s_waitcnt vmcnt(0)
	v_and_b32_e32 v43, 0xffff0000, v38
	v_lshlrev_b32_e32 v42, 16, v38
	v_pk_mul_f32 v[42:43], v[6:7], v[42:43]
	v_add_f32_e32 v30, v42, v30
	v_add_f32_e32 v30, v43, v30
	v_and_b32_e32 v43, 0xffff0000, v39
	v_lshlrev_b32_e32 v42, 16, v39
	v_pk_mul_f32 v[38:39], v[8:9], v[42:43]
	v_add_f32_e32 v30, v38, v30
	v_add_f32_e32 v30, v39, v30
	v_and_b32_e32 v39, 0xffff0000, v40
	v_lshlrev_b32_e32 v38, 16, v40
	v_pk_mul_f32 v[38:39], v[2:3], v[38:39]
	v_add_f32_e32 v30, v38, v30
	v_add_f32_e32 v30, v39, v30
	v_and_b32_e32 v39, 0xffff0000, v41
	v_lshlrev_b32_e32 v38, 16, v41
	v_pk_mul_f32 v[38:39], v[4:5], v[38:39]
	v_add_f32_e32 v30, v38, v30
	v_add_co_u32_e32 v38, vcc, s13, v36
	v_add_f32_e32 v30, v39, v30
	v_addc_co_u32_e32 v39, vcc, 0, v37, vcc
	global_load_dwordx4 v[38:41], v[38:39], off offset:2048
	s_waitcnt vmcnt(0)
	v_and_b32_e32 v43, 0xffff0000, v38
	v_lshlrev_b32_e32 v42, 16, v38
	v_pk_mul_f32 v[42:43], v[6:7], v[42:43]
	v_add_f32_e32 v29, v42, v29
	v_add_f32_e32 v29, v43, v29
	v_and_b32_e32 v43, 0xffff0000, v39
	v_lshlrev_b32_e32 v42, 16, v39
	v_pk_mul_f32 v[38:39], v[8:9], v[42:43]
	v_add_f32_e32 v29, v38, v29
	v_add_f32_e32 v29, v39, v29
	v_and_b32_e32 v39, 0xffff0000, v40
	v_lshlrev_b32_e32 v38, 16, v40
	v_pk_mul_f32 v[38:39], v[2:3], v[38:39]
	v_add_f32_e32 v29, v38, v29
	v_add_f32_e32 v29, v39, v29
	v_and_b32_e32 v39, 0xffff0000, v41
	v_lshlrev_b32_e32 v38, 16, v41
	v_pk_mul_f32 v[38:39], v[4:5], v[38:39]
	v_add_f32_e32 v29, v38, v29
	v_add_co_u32_e32 v38, vcc, s14, v36
	v_add_f32_e32 v29, v39, v29
	v_addc_co_u32_e32 v39, vcc, 0, v37, vcc
	global_load_dwordx4 v[38:41], v[38:39], off
	s_waitcnt vmcnt(0)
	v_and_b32_e32 v43, 0xffff0000, v38
	v_lshlrev_b32_e32 v42, 16, v38
	v_pk_mul_f32 v[42:43], v[6:7], v[42:43]
	v_add_f32_e32 v28, v42, v28
	v_add_f32_e32 v28, v43, v28
	v_and_b32_e32 v43, 0xffff0000, v39
	v_lshlrev_b32_e32 v42, 16, v39
	v_pk_mul_f32 v[38:39], v[8:9], v[42:43]
	v_add_f32_e32 v28, v38, v28
	v_add_f32_e32 v28, v39, v28
	v_and_b32_e32 v39, 0xffff0000, v40
	v_lshlrev_b32_e32 v38, 16, v40
	v_pk_mul_f32 v[38:39], v[2:3], v[38:39]
	v_add_f32_e32 v28, v38, v28
	v_add_f32_e32 v28, v39, v28
	v_and_b32_e32 v39, 0xffff0000, v41
	v_lshlrev_b32_e32 v38, 16, v41
	v_pk_mul_f32 v[38:39], v[4:5], v[38:39]
	v_add_f32_e32 v28, v38, v28
	v_add_co_u32_e32 v38, vcc, s15, v36
	v_add_f32_e32 v28, v39, v28
	v_addc_co_u32_e32 v39, vcc, 0, v37, vcc
	global_load_dwordx4 v[38:41], v[38:39], off offset:2048
	s_waitcnt vmcnt(0)
	v_and_b32_e32 v43, 0xffff0000, v38
	v_lshlrev_b32_e32 v42, 16, v38
	v_pk_mul_f32 v[42:43], v[6:7], v[42:43]
	v_add_f32_e32 v27, v42, v27
	v_add_f32_e32 v27, v43, v27
	v_and_b32_e32 v43, 0xffff0000, v39
	v_lshlrev_b32_e32 v42, 16, v39
	v_pk_mul_f32 v[38:39], v[8:9], v[42:43]
	v_add_f32_e32 v27, v38, v27
	v_add_f32_e32 v27, v39, v27
	v_and_b32_e32 v39, 0xffff0000, v40
	v_lshlrev_b32_e32 v38, 16, v40
	v_pk_mul_f32 v[38:39], v[2:3], v[38:39]
	v_add_f32_e32 v27, v38, v27
	v_add_f32_e32 v27, v39, v27
	v_and_b32_e32 v39, 0xffff0000, v41
	v_lshlrev_b32_e32 v38, 16, v41
	v_pk_mul_f32 v[38:39], v[4:5], v[38:39]
	v_add_f32_e32 v27, v38, v27
	v_add_co_u32_e32 v38, vcc, s16, v36
	v_add_f32_e32 v27, v39, v27
	v_addc_co_u32_e32 v39, vcc, 0, v37, vcc
	global_load_dwordx4 v[38:41], v[38:39], off
	s_waitcnt vmcnt(0)
	v_and_b32_e32 v43, 0xffff0000, v38
	v_lshlrev_b32_e32 v42, 16, v38
	v_pk_mul_f32 v[42:43], v[6:7], v[42:43]
	v_add_f32_e32 v26, v42, v26
	v_add_f32_e32 v26, v43, v26
	v_and_b32_e32 v43, 0xffff0000, v39
	v_lshlrev_b32_e32 v42, 16, v39
	v_pk_mul_f32 v[38:39], v[8:9], v[42:43]
	v_add_f32_e32 v26, v38, v26
	v_add_f32_e32 v26, v39, v26
	v_and_b32_e32 v39, 0xffff0000, v40
	v_lshlrev_b32_e32 v38, 16, v40
	v_pk_mul_f32 v[38:39], v[2:3], v[38:39]
	v_add_f32_e32 v26, v38, v26
	v_add_f32_e32 v26, v39, v26
	v_and_b32_e32 v39, 0xffff0000, v41
	v_lshlrev_b32_e32 v38, 16, v41
	v_pk_mul_f32 v[38:39], v[4:5], v[38:39]
	v_add_f32_e32 v26, v38, v26
	v_add_co_u32_e32 v38, vcc, s17, v36
	v_add_f32_e32 v26, v39, v26
	v_addc_co_u32_e32 v39, vcc, 0, v37, vcc
	global_load_dwordx4 v[38:41], v[38:39], off offset:2048
	s_waitcnt vmcnt(0)
	v_and_b32_e32 v43, 0xffff0000, v38
	v_lshlrev_b32_e32 v42, 16, v38
	v_pk_mul_f32 v[42:43], v[6:7], v[42:43]
	v_add_f32_e32 v25, v42, v25
	v_add_f32_e32 v25, v43, v25
	v_and_b32_e32 v43, 0xffff0000, v39
	v_lshlrev_b32_e32 v42, 16, v39
	v_pk_mul_f32 v[38:39], v[8:9], v[42:43]
	v_add_f32_e32 v25, v38, v25
	v_add_f32_e32 v25, v39, v25
	v_and_b32_e32 v39, 0xffff0000, v40
	v_lshlrev_b32_e32 v38, 16, v40
	v_pk_mul_f32 v[38:39], v[2:3], v[38:39]
	v_add_f32_e32 v25, v38, v25
	v_add_f32_e32 v25, v39, v25
	v_and_b32_e32 v39, 0xffff0000, v41
	v_lshlrev_b32_e32 v38, 16, v41
	v_pk_mul_f32 v[38:39], v[4:5], v[38:39]
	v_add_f32_e32 v25, v38, v25
	v_add_co_u32_e32 v38, vcc, s18, v36
	v_add_f32_e32 v25, v39, v25
	v_addc_co_u32_e32 v39, vcc, 0, v37, vcc
	global_load_dwordx4 v[38:41], v[38:39], off
	s_waitcnt vmcnt(0)
	v_and_b32_e32 v43, 0xffff0000, v38
	v_lshlrev_b32_e32 v42, 16, v38
	v_pk_mul_f32 v[42:43], v[6:7], v[42:43]
	v_add_f32_e32 v24, v42, v24
	v_add_f32_e32 v24, v43, v24
	v_and_b32_e32 v43, 0xffff0000, v39
	v_lshlrev_b32_e32 v42, 16, v39
	v_pk_mul_f32 v[38:39], v[8:9], v[42:43]
	v_add_f32_e32 v24, v38, v24
	v_add_f32_e32 v24, v39, v24
	v_and_b32_e32 v39, 0xffff0000, v40
	v_lshlrev_b32_e32 v38, 16, v40
	v_pk_mul_f32 v[38:39], v[2:3], v[38:39]
	v_add_f32_e32 v24, v38, v24
	v_add_f32_e32 v24, v39, v24
	v_and_b32_e32 v39, 0xffff0000, v41
	v_lshlrev_b32_e32 v38, 16, v41
	v_pk_mul_f32 v[38:39], v[4:5], v[38:39]
	v_add_f32_e32 v24, v38, v24
	v_add_co_u32_e32 v38, vcc, s19, v36
	v_add_f32_e32 v24, v39, v24
	v_addc_co_u32_e32 v39, vcc, 0, v37, vcc
	global_load_dwordx4 v[38:41], v[38:39], off offset:2048
	s_waitcnt vmcnt(0)
	v_and_b32_e32 v43, 0xffff0000, v38
	v_lshlrev_b32_e32 v42, 16, v38
	v_pk_mul_f32 v[42:43], v[6:7], v[42:43]
	v_add_f32_e32 v23, v42, v23
	v_add_f32_e32 v23, v43, v23
	v_and_b32_e32 v43, 0xffff0000, v39
	v_lshlrev_b32_e32 v42, 16, v39
	v_pk_mul_f32 v[38:39], v[8:9], v[42:43]
	v_add_f32_e32 v23, v38, v23
	v_add_f32_e32 v23, v39, v23
	v_and_b32_e32 v39, 0xffff0000, v40
	v_lshlrev_b32_e32 v38, 16, v40
	v_pk_mul_f32 v[38:39], v[2:3], v[38:39]
	v_add_f32_e32 v23, v38, v23
	v_add_f32_e32 v23, v39, v23
	v_and_b32_e32 v39, 0xffff0000, v41
	v_lshlrev_b32_e32 v38, 16, v41
	v_pk_mul_f32 v[38:39], v[4:5], v[38:39]
	v_add_f32_e32 v23, v38, v23
	v_add_co_u32_e32 v38, vcc, s20, v36
	v_add_f32_e32 v23, v39, v23
	v_addc_co_u32_e32 v39, vcc, 0, v37, vcc
	global_load_dwordx4 v[38:41], v[38:39], off
	s_waitcnt vmcnt(0)
	v_and_b32_e32 v43, 0xffff0000, v38
	v_lshlrev_b32_e32 v42, 16, v38
	v_pk_mul_f32 v[42:43], v[6:7], v[42:43]
	v_add_f32_e32 v22, v42, v22
	v_add_f32_e32 v22, v43, v22
	v_and_b32_e32 v43, 0xffff0000, v39
	v_lshlrev_b32_e32 v42, 16, v39
	v_pk_mul_f32 v[38:39], v[8:9], v[42:43]
	v_add_f32_e32 v22, v38, v22
	v_add_f32_e32 v22, v39, v22
	v_and_b32_e32 v39, 0xffff0000, v40
	v_lshlrev_b32_e32 v38, 16, v40
	v_pk_mul_f32 v[38:39], v[2:3], v[38:39]
	v_add_f32_e32 v22, v38, v22
	v_add_f32_e32 v22, v39, v22
	v_and_b32_e32 v39, 0xffff0000, v41
	v_lshlrev_b32_e32 v38, 16, v41
	v_pk_mul_f32 v[38:39], v[4:5], v[38:39]
	v_add_f32_e32 v22, v38, v22
	v_add_co_u32_e32 v38, vcc, s21, v36
	v_add_f32_e32 v22, v39, v22
	v_addc_co_u32_e32 v39, vcc, 0, v37, vcc
	global_load_dwordx4 v[38:41], v[38:39], off offset:2048
	s_waitcnt vmcnt(0)
	v_and_b32_e32 v43, 0xffff0000, v38
	v_lshlrev_b32_e32 v42, 16, v38
	v_pk_mul_f32 v[42:43], v[6:7], v[42:43]
	v_add_f32_e32 v21, v42, v21
	v_add_f32_e32 v21, v43, v21
	v_and_b32_e32 v43, 0xffff0000, v39
	v_lshlrev_b32_e32 v42, 16, v39
	v_pk_mul_f32 v[38:39], v[8:9], v[42:43]
	v_add_f32_e32 v21, v38, v21
	v_add_f32_e32 v21, v39, v21
	v_and_b32_e32 v39, 0xffff0000, v40
	v_lshlrev_b32_e32 v38, 16, v40
	v_pk_mul_f32 v[38:39], v[2:3], v[38:39]
	v_add_f32_e32 v21, v38, v21
	v_add_f32_e32 v21, v39, v21
	v_and_b32_e32 v39, 0xffff0000, v41
	v_lshlrev_b32_e32 v38, 16, v41
	v_pk_mul_f32 v[38:39], v[4:5], v[38:39]
	v_add_f32_e32 v21, v38, v21
	v_add_co_u32_e32 v38, vcc, s22, v36
	v_add_f32_e32 v21, v39, v21
	v_addc_co_u32_e32 v39, vcc, 0, v37, vcc
	global_load_dwordx4 v[38:41], v[38:39], off
	s_waitcnt vmcnt(0)
	v_and_b32_e32 v43, 0xffff0000, v38
	v_lshlrev_b32_e32 v42, 16, v38
	v_pk_mul_f32 v[42:43], v[6:7], v[42:43]
	v_add_f32_e32 v20, v42, v20
	v_add_f32_e32 v20, v43, v20
	v_and_b32_e32 v43, 0xffff0000, v39
	v_lshlrev_b32_e32 v42, 16, v39
	v_pk_mul_f32 v[38:39], v[8:9], v[42:43]
	v_add_f32_e32 v20, v38, v20
	v_add_f32_e32 v20, v39, v20
	v_and_b32_e32 v39, 0xffff0000, v40
	v_lshlrev_b32_e32 v38, 16, v40
	v_pk_mul_f32 v[38:39], v[2:3], v[38:39]
	v_add_f32_e32 v20, v38, v20
	v_add_f32_e32 v20, v39, v20
	v_and_b32_e32 v39, 0xffff0000, v41
	v_lshlrev_b32_e32 v38, 16, v41
	v_pk_mul_f32 v[38:39], v[4:5], v[38:39]
	v_add_f32_e32 v20, v38, v20
	v_add_co_u32_e32 v38, vcc, s23, v36
	v_add_f32_e32 v20, v39, v20
	v_addc_co_u32_e32 v39, vcc, 0, v37, vcc
	global_load_dwordx4 v[38:41], v[38:39], off offset:2048
	s_waitcnt vmcnt(0)
	v_and_b32_e32 v43, 0xffff0000, v38
	v_lshlrev_b32_e32 v42, 16, v38
	v_pk_mul_f32 v[42:43], v[6:7], v[42:43]
	v_add_f32_e32 v19, v42, v19
	v_add_f32_e32 v19, v43, v19
	v_and_b32_e32 v43, 0xffff0000, v39
	v_lshlrev_b32_e32 v42, 16, v39
	v_pk_mul_f32 v[38:39], v[8:9], v[42:43]
	v_add_f32_e32 v19, v38, v19
	v_add_f32_e32 v19, v39, v19
	v_and_b32_e32 v39, 0xffff0000, v40
	v_lshlrev_b32_e32 v38, 16, v40
	v_pk_mul_f32 v[38:39], v[2:3], v[38:39]
	v_add_f32_e32 v19, v38, v19
	v_add_f32_e32 v19, v39, v19
	v_and_b32_e32 v39, 0xffff0000, v41
	v_lshlrev_b32_e32 v38, 16, v41
	v_pk_mul_f32 v[38:39], v[4:5], v[38:39]
	v_add_f32_e32 v19, v38, v19
	v_add_co_u32_e32 v38, vcc, s24, v36
	v_add_f32_e32 v19, v39, v19
	v_addc_co_u32_e32 v39, vcc, 0, v37, vcc
	global_load_dwordx4 v[38:41], v[38:39], off
	s_waitcnt vmcnt(0)
	v_and_b32_e32 v43, 0xffff0000, v38
	v_lshlrev_b32_e32 v42, 16, v38
	v_pk_mul_f32 v[42:43], v[6:7], v[42:43]
	v_add_f32_e32 v17, v42, v17
	v_add_f32_e32 v17, v43, v17
	v_and_b32_e32 v43, 0xffff0000, v39
	v_lshlrev_b32_e32 v42, 16, v39
	v_pk_mul_f32 v[38:39], v[8:9], v[42:43]
	v_add_f32_e32 v17, v38, v17
	v_add_f32_e32 v17, v39, v17
	v_and_b32_e32 v39, 0xffff0000, v40
	v_lshlrev_b32_e32 v38, 16, v40
	v_pk_mul_f32 v[38:39], v[2:3], v[38:39]
	v_add_f32_e32 v17, v38, v17
	v_add_f32_e32 v17, v39, v17
	v_and_b32_e32 v39, 0xffff0000, v41
	v_lshlrev_b32_e32 v38, 16, v41
	v_pk_mul_f32 v[38:39], v[4:5], v[38:39]
	v_add_f32_e32 v17, v38, v17
	v_add_co_u32_e32 v38, vcc, s25, v36
	v_add_f32_e32 v17, v39, v17
	v_addc_co_u32_e32 v39, vcc, 0, v37, vcc
	global_load_dwordx4 v[38:41], v[38:39], off offset:2048
	s_waitcnt vmcnt(0)
	v_and_b32_e32 v43, 0xffff0000, v38
	v_lshlrev_b32_e32 v42, 16, v38
	v_pk_mul_f32 v[42:43], v[6:7], v[42:43]
	v_add_f32_e32 v16, v42, v16
	v_add_f32_e32 v16, v43, v16
	v_and_b32_e32 v43, 0xffff0000, v39
	v_lshlrev_b32_e32 v42, 16, v39
	v_pk_mul_f32 v[38:39], v[8:9], v[42:43]
	v_add_f32_e32 v16, v38, v16
	v_add_f32_e32 v16, v39, v16
	v_and_b32_e32 v39, 0xffff0000, v40
	v_lshlrev_b32_e32 v38, 16, v40
	v_pk_mul_f32 v[38:39], v[2:3], v[38:39]
	v_add_f32_e32 v16, v38, v16
	v_add_f32_e32 v16, v39, v16
	v_and_b32_e32 v39, 0xffff0000, v41
	v_lshlrev_b32_e32 v38, 16, v41
	v_pk_mul_f32 v[38:39], v[4:5], v[38:39]
	v_add_f32_e32 v16, v38, v16
	v_add_co_u32_e32 v38, vcc, s26, v36
	v_add_f32_e32 v16, v39, v16
	v_addc_co_u32_e32 v39, vcc, 0, v37, vcc
	global_load_dwordx4 v[38:41], v[38:39], off
	s_waitcnt vmcnt(0)
	v_and_b32_e32 v43, 0xffff0000, v38
	v_lshlrev_b32_e32 v42, 16, v38
	v_pk_mul_f32 v[42:43], v[6:7], v[42:43]
	v_add_f32_e32 v15, v42, v15
	v_add_f32_e32 v15, v43, v15
	v_and_b32_e32 v43, 0xffff0000, v39
	v_lshlrev_b32_e32 v42, 16, v39
	v_pk_mul_f32 v[38:39], v[8:9], v[42:43]
	v_add_f32_e32 v15, v38, v15
	v_add_f32_e32 v15, v39, v15
	v_and_b32_e32 v39, 0xffff0000, v40
	v_lshlrev_b32_e32 v38, 16, v40
	v_pk_mul_f32 v[38:39], v[2:3], v[38:39]
	v_add_f32_e32 v15, v38, v15
	v_add_f32_e32 v15, v39, v15
	v_and_b32_e32 v39, 0xffff0000, v41
	v_lshlrev_b32_e32 v38, 16, v41
	v_pk_mul_f32 v[38:39], v[4:5], v[38:39]
	v_add_f32_e32 v15, v38, v15
	v_add_co_u32_e32 v38, vcc, s27, v36
	v_add_f32_e32 v15, v39, v15
	v_addc_co_u32_e32 v39, vcc, 0, v37, vcc
	global_load_dwordx4 v[38:41], v[38:39], off offset:2048
	s_waitcnt vmcnt(0)
	v_and_b32_e32 v43, 0xffff0000, v38
	v_lshlrev_b32_e32 v42, 16, v38
	v_pk_mul_f32 v[42:43], v[6:7], v[42:43]
	v_add_f32_e32 v14, v42, v14
	v_add_f32_e32 v14, v43, v14
	v_and_b32_e32 v43, 0xffff0000, v39
	v_lshlrev_b32_e32 v42, 16, v39
	v_pk_mul_f32 v[38:39], v[8:9], v[42:43]
	v_add_f32_e32 v14, v38, v14
	v_add_f32_e32 v14, v39, v14
	v_and_b32_e32 v39, 0xffff0000, v40
	v_lshlrev_b32_e32 v38, 16, v40
	v_pk_mul_f32 v[38:39], v[2:3], v[38:39]
	v_add_f32_e32 v14, v38, v14
	v_add_f32_e32 v14, v39, v14
	v_and_b32_e32 v39, 0xffff0000, v41
	v_lshlrev_b32_e32 v38, 16, v41
	v_pk_mul_f32 v[38:39], v[4:5], v[38:39]
	v_add_f32_e32 v14, v38, v14
	v_add_co_u32_e32 v38, vcc, s28, v36
	v_add_f32_e32 v14, v39, v14
	v_addc_co_u32_e32 v39, vcc, 0, v37, vcc
	global_load_dwordx4 v[38:41], v[38:39], off
	s_waitcnt vmcnt(0)
	v_and_b32_e32 v43, 0xffff0000, v38
	v_lshlrev_b32_e32 v42, 16, v38
	v_pk_mul_f32 v[42:43], v[6:7], v[42:43]
	v_add_f32_e32 v13, v42, v13
	v_add_f32_e32 v13, v43, v13
	v_and_b32_e32 v43, 0xffff0000, v39
	v_lshlrev_b32_e32 v42, 16, v39
	v_pk_mul_f32 v[38:39], v[8:9], v[42:43]
	v_add_f32_e32 v13, v38, v13
	v_add_f32_e32 v13, v39, v13
	;; [unrolled: 5-line block ×3, first 2 shown]
	v_and_b32_e32 v39, 0xffff0000, v41
	v_lshlrev_b32_e32 v38, 16, v41
	v_pk_mul_f32 v[38:39], v[4:5], v[38:39]
	v_add_f32_e32 v13, v38, v13
	v_add_co_u32_e32 v38, vcc, s29, v36
	v_add_f32_e32 v13, v39, v13
	v_addc_co_u32_e32 v39, vcc, 0, v37, vcc
	global_load_dwordx4 v[38:41], v[38:39], off offset:2048
	v_add_co_u32_e32 v36, vcc, s30, v36
	v_addc_co_u32_e32 v37, vcc, 0, v37, vcc
	s_waitcnt vmcnt(0)
	v_and_b32_e32 v43, 0xffff0000, v38
	v_lshlrev_b32_e32 v42, 16, v38
	v_pk_mul_f32 v[42:43], v[6:7], v[42:43]
	v_add_f32_e32 v11, v42, v11
	v_add_f32_e32 v11, v43, v11
	v_and_b32_e32 v43, 0xffff0000, v39
	v_lshlrev_b32_e32 v42, 16, v39
	v_pk_mul_f32 v[38:39], v[8:9], v[42:43]
	v_add_f32_e32 v11, v38, v11
	v_add_f32_e32 v11, v39, v11
	;; [unrolled: 5-line block ×4, first 2 shown]
	global_load_dwordx4 v[36:39], v[36:37], off
	s_waitcnt vmcnt(0)
	v_and_b32_e32 v41, 0xffff0000, v36
	v_lshlrev_b32_e32 v40, 16, v36
	v_pk_mul_f32 v[6:7], v[6:7], v[40:41]
	v_add_f32_e32 v6, v6, v18
	v_add_f32_e32 v18, v7, v6
	v_and_b32_e32 v7, 0xffff0000, v37
	v_lshlrev_b32_e32 v6, 16, v37
	v_pk_mul_f32 v[6:7], v[8:9], v[6:7]
	v_add_f32_e32 v6, v6, v18
	v_add_f32_e32 v8, v7, v6
	;; [unrolled: 5-line block ×4, first 2 shown]
	s_cbranch_scc0 .LBB54_1
; %bb.2:
	v_mbcnt_lo_u32_b32 v1, -1, 0
	v_mbcnt_hi_u32_b32 v5, -1, v1
	v_and_b32_e32 v2, 64, v5
	v_xor_b32_e32 v1, 16, v5
	v_add_u32_e32 v6, 64, v2
	v_cmp_lt_i32_e32 vcc, v1, v6
	v_cndmask_b32_e32 v1, v5, v1, vcc
	v_lshlrev_b32_e32 v1, 2, v1
	ds_bpermute_b32 v3, v1, v34
	v_xor_b32_e32 v2, 8, v5
	v_cmp_lt_i32_e32 vcc, v2, v6
	v_cndmask_b32_e32 v2, v5, v2, vcc
	v_lshlrev_b32_e32 v2, 2, v2
	s_waitcnt lgkmcnt(0)
	v_add_f32_e32 v4, v34, v3
	ds_bpermute_b32 v7, v2, v4
	v_xor_b32_e32 v3, 4, v5
	v_cmp_lt_i32_e32 vcc, v3, v6
	v_cndmask_b32_e32 v3, v5, v3, vcc
	v_lshlrev_b32_e32 v3, 2, v3
	s_waitcnt lgkmcnt(0)
	v_add_f32_e32 v7, v4, v7
	;; [unrolled: 7-line block ×4, first 2 shown]
	ds_bpermute_b32 v8, v6, v7
	v_lshrrev_b32_e32 v5, 5, v0
	v_and_b32_e32 v9, 31, v0
	v_cmp_eq_u32_e32 vcc, 0, v9
	v_lshlrev_b32_e32 v5, 2, v5
	s_and_saveexec_b64 s[2:3], vcc
	s_cbranch_execz .LBB54_4
; %bb.3:
	s_waitcnt lgkmcnt(0)
	v_add_f32_e32 v7, v7, v8
	ds_write_b32 v5, v7
.LBB54_4:
	s_or_b64 exec, exec, s[2:3]
	ds_bpermute_b32 v7, v1, v33
	s_waitcnt lgkmcnt(0)
	v_add_f32_e32 v7, v33, v7
	ds_bpermute_b32 v8, v2, v7
	s_waitcnt lgkmcnt(0)
	v_add_f32_e32 v7, v7, v8
	ds_bpermute_b32 v8, v3, v7
	s_waitcnt lgkmcnt(0)
	v_add_f32_e32 v7, v7, v8
	ds_bpermute_b32 v8, v4, v7
	s_waitcnt lgkmcnt(0)
	v_add_f32_e32 v7, v7, v8
	ds_bpermute_b32 v8, v6, v7
	s_and_saveexec_b64 s[2:3], vcc
	s_cbranch_execz .LBB54_6
; %bb.5:
	s_waitcnt lgkmcnt(0)
	v_add_f32_e32 v7, v7, v8
	ds_write_b32 v5, v7 offset:16
.LBB54_6:
	s_or_b64 exec, exec, s[2:3]
	ds_bpermute_b32 v7, v1, v32
	s_waitcnt lgkmcnt(0)
	v_add_f32_e32 v7, v32, v7
	ds_bpermute_b32 v8, v2, v7
	s_waitcnt lgkmcnt(0)
	v_add_f32_e32 v7, v7, v8
	ds_bpermute_b32 v8, v3, v7
	s_waitcnt lgkmcnt(0)
	v_add_f32_e32 v7, v7, v8
	ds_bpermute_b32 v8, v4, v7
	s_waitcnt lgkmcnt(0)
	v_add_f32_e32 v7, v7, v8
	ds_bpermute_b32 v8, v6, v7
	s_and_saveexec_b64 s[2:3], vcc
	s_cbranch_execz .LBB54_8
; %bb.7:
	s_waitcnt lgkmcnt(0)
	v_add_f32_e32 v7, v7, v8
	ds_write_b32 v5, v7 offset:32
.LBB54_8:
	;; [unrolled: 21-line block ×22, first 2 shown]
	s_or_b64 exec, exec, s[2:3]
	v_cmp_eq_u32_e32 vcc, 0, v0
	s_waitcnt lgkmcnt(0)
	s_barrier
	s_and_saveexec_b64 s[2:3], vcc
	s_cbranch_execz .LBB54_50
; %bb.49:
	v_mov_b32_e32 v16, 0
	ds_read_b128 v[0:3], v16
	s_ashr_i32 s7, s6, 31
	ds_read_b128 v[4:7], v16 offset:16
	ds_read_b128 v[8:11], v16 offset:32
	;; [unrolled: 1-line block ×3, first 2 shown]
	s_lshl_b64 s[2:3], s[6:7], 2
	s_add_u32 s0, s0, s2
	s_waitcnt lgkmcnt(3)
	v_add_f32_e32 v0, 0, v0
	v_add_f32_e32 v0, v0, v1
	;; [unrolled: 1-line block ×4, first 2 shown]
	s_addc_u32 s1, s1, s3
	global_store_dword v16, v0, s[0:1]
	s_waitcnt lgkmcnt(2)
	v_add_f32_e32 v0, 0, v4
	v_add_f32_e32 v0, v0, v5
	;; [unrolled: 1-line block ×4, first 2 shown]
	global_store_dword v16, v0, s[0:1] offset:1024
	s_waitcnt lgkmcnt(1)
	v_add_f32_e32 v0, 0, v8
	v_add_f32_e32 v0, v0, v9
	v_add_f32_e32 v0, v0, v10
	v_add_f32_e32 v0, v0, v11
	global_store_dword v16, v0, s[0:1] offset:2048
	s_waitcnt lgkmcnt(0)
	v_add_f32_e32 v0, 0, v12
	v_add_f32_e32 v4, v0, v13
	ds_read_b128 v[0:3], v16 offset:64
	v_add_f32_e32 v4, v4, v14
	v_add_f32_e32 v4, v4, v15
	global_store_dword v16, v4, s[0:1] offset:3072
	ds_read_b128 v[4:7], v16 offset:80
	s_waitcnt lgkmcnt(1)
	v_add_f32_e32 v0, 0, v0
	v_add_f32_e32 v0, v0, v1
	;; [unrolled: 1-line block ×4, first 2 shown]
	v_mov_b32_e32 v8, 0x1000
	global_store_dword v8, v0, s[0:1]
	s_waitcnt lgkmcnt(0)
	v_add_f32_e32 v0, 0, v4
	v_add_f32_e32 v4, v0, v5
	ds_read_b128 v[0:3], v16 offset:96
	v_add_f32_e32 v4, v4, v6
	v_add_f32_e32 v4, v4, v7
	global_store_dword v8, v4, s[0:1] offset:1024
	ds_read_b128 v[4:7], v16 offset:112
	s_waitcnt lgkmcnt(1)
	v_add_f32_e32 v0, 0, v0
	v_add_f32_e32 v0, v0, v1
	;; [unrolled: 1-line block ×4, first 2 shown]
	global_store_dword v8, v0, s[0:1] offset:2048
	s_waitcnt lgkmcnt(0)
	v_add_f32_e32 v0, 0, v4
	v_add_f32_e32 v4, v0, v5
	ds_read_b128 v[0:3], v16 offset:128
	v_add_f32_e32 v4, v4, v6
	v_add_f32_e32 v4, v4, v7
	global_store_dword v8, v4, s[0:1] offset:3072
	ds_read_b128 v[4:7], v16 offset:144
	s_waitcnt lgkmcnt(1)
	v_add_f32_e32 v0, 0, v0
	v_add_f32_e32 v0, v0, v1
	;; [unrolled: 1-line block ×4, first 2 shown]
	v_mov_b32_e32 v12, 0x2000
	global_store_dword v12, v0, s[0:1]
	ds_read_b128 v[0:3], v16 offset:160
	ds_read_b128 v[8:11], v16 offset:176
	s_waitcnt lgkmcnt(2)
	v_add_f32_e32 v4, 0, v4
	v_add_f32_e32 v4, v4, v5
	;; [unrolled: 1-line block ×3, first 2 shown]
	s_waitcnt lgkmcnt(1)
	v_add_f32_e32 v0, 0, v0
	v_add_f32_e32 v0, v0, v1
	;; [unrolled: 1-line block ×5, first 2 shown]
	global_store_dword v12, v0, s[0:1] offset:2048
	s_waitcnt lgkmcnt(0)
	v_add_f32_e32 v0, 0, v8
	global_store_dword v12, v4, s[0:1] offset:1024
	v_add_f32_e32 v4, v0, v9
	ds_read_b128 v[0:3], v16 offset:192
	v_add_f32_e32 v4, v4, v10
	v_add_f32_e32 v4, v4, v11
	global_store_dword v12, v4, s[0:1] offset:3072
	ds_read_b128 v[4:7], v16 offset:208
	s_waitcnt lgkmcnt(1)
	v_add_f32_e32 v0, 0, v0
	v_add_f32_e32 v0, v0, v1
	;; [unrolled: 1-line block ×4, first 2 shown]
	v_mov_b32_e32 v8, 0x3000
	global_store_dword v8, v0, s[0:1]
	s_waitcnt lgkmcnt(0)
	v_add_f32_e32 v0, 0, v4
	v_add_f32_e32 v4, v0, v5
	ds_read_b128 v[0:3], v16 offset:224
	v_add_f32_e32 v4, v4, v6
	v_add_f32_e32 v4, v4, v7
	global_store_dword v8, v4, s[0:1] offset:1024
	ds_read_b128 v[4:7], v16 offset:240
	s_waitcnt lgkmcnt(1)
	v_add_f32_e32 v0, 0, v0
	v_add_f32_e32 v0, v0, v1
	;; [unrolled: 1-line block ×4, first 2 shown]
	global_store_dword v8, v0, s[0:1] offset:2048
	s_waitcnt lgkmcnt(0)
	v_add_f32_e32 v0, 0, v4
	v_add_f32_e32 v4, v0, v5
	ds_read_b128 v[0:3], v16 offset:256
	v_add_f32_e32 v4, v4, v6
	v_add_f32_e32 v4, v4, v7
	global_store_dword v8, v4, s[0:1] offset:3072
	ds_read_b128 v[4:7], v16 offset:272
	s_waitcnt lgkmcnt(1)
	v_add_f32_e32 v0, 0, v0
	v_add_f32_e32 v0, v0, v1
	;; [unrolled: 1-line block ×4, first 2 shown]
	v_mov_b32_e32 v12, 0x4000
	global_store_dword v12, v0, s[0:1]
	ds_read_b128 v[0:3], v16 offset:288
	ds_read_b128 v[8:11], v16 offset:304
	s_waitcnt lgkmcnt(2)
	v_add_f32_e32 v4, 0, v4
	v_add_f32_e32 v4, v4, v5
	;; [unrolled: 1-line block ×3, first 2 shown]
	s_waitcnt lgkmcnt(1)
	v_add_f32_e32 v0, 0, v0
	v_add_f32_e32 v0, v0, v1
	;; [unrolled: 1-line block ×5, first 2 shown]
	global_store_dword v12, v0, s[0:1] offset:2048
	s_waitcnt lgkmcnt(0)
	v_add_f32_e32 v0, 0, v8
	global_store_dword v12, v4, s[0:1] offset:1024
	v_add_f32_e32 v4, v0, v9
	ds_read_b128 v[0:3], v16 offset:320
	v_add_f32_e32 v4, v4, v10
	v_add_f32_e32 v4, v4, v11
	global_store_dword v12, v4, s[0:1] offset:3072
	ds_read_b128 v[4:7], v16 offset:336
	s_waitcnt lgkmcnt(1)
	v_add_f32_e32 v0, 0, v0
	v_add_f32_e32 v0, v0, v1
	;; [unrolled: 1-line block ×4, first 2 shown]
	v_mov_b32_e32 v8, 0x5000
	global_store_dword v8, v0, s[0:1]
	ds_read_b128 v[0:3], v16 offset:352
	s_waitcnt lgkmcnt(1)
	v_add_f32_e32 v4, 0, v4
	v_add_f32_e32 v4, v4, v5
	;; [unrolled: 1-line block ×4, first 2 shown]
	s_waitcnt lgkmcnt(0)
	v_add_f32_e32 v0, 0, v0
	v_add_f32_e32 v0, v0, v1
	;; [unrolled: 1-line block ×4, first 2 shown]
	global_store_dword v8, v4, s[0:1] offset:1024
	global_store_dword v8, v0, s[0:1] offset:2048
.LBB54_50:
	s_endpgm
	.section	.rodata,"a",@progbits
	.p2align	6, 0x0
	.amdhsa_kernel _Z23fp32_router_gemm_kernelI14__hip_bfloat16Li128ELi23ELi256ELi3072EEvPfPKT_PKf
		.amdhsa_group_segment_fixed_size 368
		.amdhsa_private_segment_fixed_size 0
		.amdhsa_kernarg_size 24
		.amdhsa_user_sgpr_count 6
		.amdhsa_user_sgpr_private_segment_buffer 1
		.amdhsa_user_sgpr_dispatch_ptr 0
		.amdhsa_user_sgpr_queue_ptr 0
		.amdhsa_user_sgpr_kernarg_segment_ptr 1
		.amdhsa_user_sgpr_dispatch_id 0
		.amdhsa_user_sgpr_flat_scratch_init 0
		.amdhsa_user_sgpr_kernarg_preload_length 0
		.amdhsa_user_sgpr_kernarg_preload_offset 0
		.amdhsa_user_sgpr_private_segment_size 0
		.amdhsa_uses_dynamic_stack 0
		.amdhsa_system_sgpr_private_segment_wavefront_offset 0
		.amdhsa_system_sgpr_workgroup_id_x 1
		.amdhsa_system_sgpr_workgroup_id_y 0
		.amdhsa_system_sgpr_workgroup_id_z 0
		.amdhsa_system_sgpr_workgroup_info 0
		.amdhsa_system_vgpr_workitem_id 0
		.amdhsa_next_free_vgpr 44
		.amdhsa_next_free_sgpr 31
		.amdhsa_accum_offset 44
		.amdhsa_reserve_vcc 1
		.amdhsa_reserve_flat_scratch 0
		.amdhsa_float_round_mode_32 0
		.amdhsa_float_round_mode_16_64 0
		.amdhsa_float_denorm_mode_32 3
		.amdhsa_float_denorm_mode_16_64 3
		.amdhsa_dx10_clamp 1
		.amdhsa_ieee_mode 1
		.amdhsa_fp16_overflow 0
		.amdhsa_tg_split 0
		.amdhsa_exception_fp_ieee_invalid_op 0
		.amdhsa_exception_fp_denorm_src 0
		.amdhsa_exception_fp_ieee_div_zero 0
		.amdhsa_exception_fp_ieee_overflow 0
		.amdhsa_exception_fp_ieee_underflow 0
		.amdhsa_exception_fp_ieee_inexact 0
		.amdhsa_exception_int_div_zero 0
	.end_amdhsa_kernel
	.section	.text._Z23fp32_router_gemm_kernelI14__hip_bfloat16Li128ELi23ELi256ELi3072EEvPfPKT_PKf,"axG",@progbits,_Z23fp32_router_gemm_kernelI14__hip_bfloat16Li128ELi23ELi256ELi3072EEvPfPKT_PKf,comdat
.Lfunc_end54:
	.size	_Z23fp32_router_gemm_kernelI14__hip_bfloat16Li128ELi23ELi256ELi3072EEvPfPKT_PKf, .Lfunc_end54-_Z23fp32_router_gemm_kernelI14__hip_bfloat16Li128ELi23ELi256ELi3072EEvPfPKT_PKf
                                        ; -- End function
	.section	.AMDGPU.csdata,"",@progbits
; Kernel info:
; codeLenInByte = 6752
; NumSgprs: 35
; NumVgprs: 44
; NumAgprs: 0
; TotalNumVgprs: 44
; ScratchSize: 0
; MemoryBound: 0
; FloatMode: 240
; IeeeMode: 1
; LDSByteSize: 368 bytes/workgroup (compile time only)
; SGPRBlocks: 4
; VGPRBlocks: 5
; NumSGPRsForWavesPerEU: 35
; NumVGPRsForWavesPerEU: 44
; AccumOffset: 44
; Occupancy: 8
; WaveLimiterHint : 1
; COMPUTE_PGM_RSRC2:SCRATCH_EN: 0
; COMPUTE_PGM_RSRC2:USER_SGPR: 6
; COMPUTE_PGM_RSRC2:TRAP_HANDLER: 0
; COMPUTE_PGM_RSRC2:TGID_X_EN: 1
; COMPUTE_PGM_RSRC2:TGID_Y_EN: 0
; COMPUTE_PGM_RSRC2:TGID_Z_EN: 0
; COMPUTE_PGM_RSRC2:TIDIG_COMP_CNT: 0
; COMPUTE_PGM_RSRC3_GFX90A:ACCUM_OFFSET: 10
; COMPUTE_PGM_RSRC3_GFX90A:TG_SPLIT: 0
	.section	.text._Z23fp32_router_gemm_kernelI14__hip_bfloat16Li128ELi24ELi256ELi3072EEvPfPKT_PKf,"axG",@progbits,_Z23fp32_router_gemm_kernelI14__hip_bfloat16Li128ELi24ELi256ELi3072EEvPfPKT_PKf,comdat
	.protected	_Z23fp32_router_gemm_kernelI14__hip_bfloat16Li128ELi24ELi256ELi3072EEvPfPKT_PKf ; -- Begin function _Z23fp32_router_gemm_kernelI14__hip_bfloat16Li128ELi24ELi256ELi3072EEvPfPKT_PKf
	.globl	_Z23fp32_router_gemm_kernelI14__hip_bfloat16Li128ELi24ELi256ELi3072EEvPfPKT_PKf
	.p2align	8
	.type	_Z23fp32_router_gemm_kernelI14__hip_bfloat16Li128ELi24ELi256ELi3072EEvPfPKT_PKf,@function
_Z23fp32_router_gemm_kernelI14__hip_bfloat16Li128ELi24ELi256ELi3072EEvPfPKT_PKf: ; @_Z23fp32_router_gemm_kernelI14__hip_bfloat16Li128ELi24ELi256ELi3072EEvPfPKT_PKf
; %bb.0:
	s_load_dwordx4 s[0:3], s[4:5], 0x0
	s_load_dwordx2 s[8:9], s[4:5], 0x10
	s_mul_i32 s4, s6, 0xc00
	s_ashr_i32 s5, s4, 31
	s_lshl_b64 s[4:5], s[4:5], 2
	v_lshlrev_b32_e32 v10, 3, v0
	s_waitcnt lgkmcnt(0)
	s_add_u32 s4, s8, s4
	v_or_b32_e32 v1, 0x400, v10
	v_or_b32_e32 v12, 0x800, v10
	s_addc_u32 s5, s9, s5
	s_mov_b64 s[8:9], 0
	v_mov_b32_e32 v35, 0
	v_mov_b32_e32 v36, s3
	s_movk_i32 s7, 0x1000
	s_movk_i32 s10, 0x3000
	;; [unrolled: 1-line block ×5, first 2 shown]
	s_mov_b32 s14, 0x9000
	s_mov_b32 s15, 0xa000
	;; [unrolled: 1-line block ×18, first 2 shown]
	v_mov_b32_e32 v34, 0
	v_mov_b32_e32 v33, 0
	v_mov_b32_e32 v32, 0
	v_mov_b32_e32 v31, 0
	v_mov_b32_e32 v30, 0
	v_mov_b32_e32 v29, 0
	v_mov_b32_e32 v28, 0
	v_mov_b32_e32 v27, 0
	v_mov_b32_e32 v26, 0
	v_mov_b32_e32 v25, 0
	v_mov_b32_e32 v24, 0
	v_mov_b32_e32 v23, 0
	v_mov_b32_e32 v22, 0
	v_mov_b32_e32 v21, 0
	v_mov_b32_e32 v20, 0
	v_mov_b32_e32 v19, 0
	v_mov_b32_e32 v18, 0
	v_mov_b32_e32 v16, 0
	v_mov_b32_e32 v15, 0
	v_mov_b32_e32 v14, 0
	v_mov_b32_e32 v13, 0
	v_mov_b32_e32 v11, 0
	v_mov_b32_e32 v17, 0
.LBB55_1:                               ; =>This Inner Loop Header: Depth=1
	s_cmp_eq_u32 s8, 1
	s_cselect_b64 vcc, -1, 0
	s_cmp_eq_u32 s8, 2
	v_cndmask_b32_e32 v2, v10, v1, vcc
	s_cselect_b64 vcc, -1, 0
	v_cndmask_b32_e32 v2, v2, v12, vcc
	v_lshlrev_b32_e32 v39, 2, v2
	v_lshlrev_b32_e32 v44, 1, v2
	global_load_dwordx4 v[2:5], v39, s[4:5] offset:16
	global_load_dwordx4 v[6:9], v39, s[4:5]
	global_load_dwordx4 v[40:43], v44, s[2:3]
	v_add_co_u32_e32 v37, vcc, s2, v44
	v_addc_co_u32_e32 v38, vcc, 0, v36, vcc
	s_add_u32 s8, s8, 1
	s_addc_u32 s9, s9, 0
	s_cmp_eq_u32 s8, 3
	s_waitcnt vmcnt(0)
	v_and_b32_e32 v45, 0xffff0000, v40
	v_lshlrev_b32_e32 v44, 16, v40
	v_pk_mul_f32 v[44:45], v[6:7], v[44:45]
	v_add_f32_e32 v35, v44, v35
	v_add_f32_e32 v35, v45, v35
	v_and_b32_e32 v45, 0xffff0000, v41
	v_lshlrev_b32_e32 v44, 16, v41
	v_pk_mul_f32 v[40:41], v[8:9], v[44:45]
	v_add_f32_e32 v35, v40, v35
	v_add_f32_e32 v35, v41, v35
	v_and_b32_e32 v41, 0xffff0000, v42
	v_lshlrev_b32_e32 v40, 16, v42
	v_pk_mul_f32 v[40:41], v[2:3], v[40:41]
	v_add_f32_e32 v35, v40, v35
	v_add_f32_e32 v35, v41, v35
	v_and_b32_e32 v41, 0xffff0000, v43
	v_lshlrev_b32_e32 v40, 16, v43
	v_pk_mul_f32 v[40:41], v[4:5], v[40:41]
	v_add_f32_e32 v35, v40, v35
	v_add_co_u32_e32 v40, vcc, s7, v37
	v_add_f32_e32 v35, v41, v35
	v_addc_co_u32_e32 v41, vcc, 0, v38, vcc
	global_load_dwordx4 v[40:43], v[40:41], off offset:2048
	s_waitcnt vmcnt(0)
	v_and_b32_e32 v45, 0xffff0000, v40
	v_lshlrev_b32_e32 v44, 16, v40
	v_pk_mul_f32 v[44:45], v[6:7], v[44:45]
	v_add_f32_e32 v34, v44, v34
	v_add_f32_e32 v34, v45, v34
	v_and_b32_e32 v45, 0xffff0000, v41
	v_lshlrev_b32_e32 v44, 16, v41
	v_pk_mul_f32 v[40:41], v[8:9], v[44:45]
	v_add_f32_e32 v34, v40, v34
	v_add_f32_e32 v34, v41, v34
	v_and_b32_e32 v41, 0xffff0000, v42
	v_lshlrev_b32_e32 v40, 16, v42
	v_pk_mul_f32 v[40:41], v[2:3], v[40:41]
	v_add_f32_e32 v34, v40, v34
	v_add_f32_e32 v34, v41, v34
	v_and_b32_e32 v41, 0xffff0000, v43
	v_lshlrev_b32_e32 v40, 16, v43
	v_pk_mul_f32 v[40:41], v[4:5], v[40:41]
	v_add_f32_e32 v34, v40, v34
	v_add_co_u32_e32 v40, vcc, s10, v37
	v_add_f32_e32 v34, v41, v34
	v_addc_co_u32_e32 v41, vcc, 0, v38, vcc
	global_load_dwordx4 v[40:43], v[40:41], off
	s_waitcnt vmcnt(0)
	v_and_b32_e32 v45, 0xffff0000, v40
	v_lshlrev_b32_e32 v44, 16, v40
	v_pk_mul_f32 v[44:45], v[6:7], v[44:45]
	v_add_f32_e32 v33, v44, v33
	v_add_f32_e32 v33, v45, v33
	v_and_b32_e32 v45, 0xffff0000, v41
	v_lshlrev_b32_e32 v44, 16, v41
	v_pk_mul_f32 v[40:41], v[8:9], v[44:45]
	v_add_f32_e32 v33, v40, v33
	v_add_f32_e32 v33, v41, v33
	v_and_b32_e32 v41, 0xffff0000, v42
	v_lshlrev_b32_e32 v40, 16, v42
	v_pk_mul_f32 v[40:41], v[2:3], v[40:41]
	v_add_f32_e32 v33, v40, v33
	v_add_f32_e32 v33, v41, v33
	v_and_b32_e32 v41, 0xffff0000, v43
	v_lshlrev_b32_e32 v40, 16, v43
	v_pk_mul_f32 v[40:41], v[4:5], v[40:41]
	v_add_f32_e32 v33, v40, v33
	v_add_co_u32_e32 v40, vcc, s11, v37
	v_add_f32_e32 v33, v41, v33
	v_addc_co_u32_e32 v41, vcc, 0, v38, vcc
	global_load_dwordx4 v[40:43], v[40:41], off offset:2048
	s_waitcnt vmcnt(0)
	v_and_b32_e32 v45, 0xffff0000, v40
	v_lshlrev_b32_e32 v44, 16, v40
	v_pk_mul_f32 v[44:45], v[6:7], v[44:45]
	v_add_f32_e32 v32, v44, v32
	v_add_f32_e32 v32, v45, v32
	v_and_b32_e32 v45, 0xffff0000, v41
	v_lshlrev_b32_e32 v44, 16, v41
	v_pk_mul_f32 v[40:41], v[8:9], v[44:45]
	v_add_f32_e32 v32, v40, v32
	v_add_f32_e32 v32, v41, v32
	v_and_b32_e32 v41, 0xffff0000, v42
	v_lshlrev_b32_e32 v40, 16, v42
	v_pk_mul_f32 v[40:41], v[2:3], v[40:41]
	v_add_f32_e32 v32, v40, v32
	v_add_f32_e32 v32, v41, v32
	v_and_b32_e32 v41, 0xffff0000, v43
	v_lshlrev_b32_e32 v40, 16, v43
	v_pk_mul_f32 v[40:41], v[4:5], v[40:41]
	v_add_f32_e32 v32, v40, v32
	v_add_co_u32_e32 v40, vcc, s12, v37
	v_add_f32_e32 v32, v41, v32
	v_addc_co_u32_e32 v41, vcc, 0, v38, vcc
	global_load_dwordx4 v[40:43], v[40:41], off
	;; [unrolled: 48-line block ×11, first 2 shown]
	s_waitcnt vmcnt(0)
	v_and_b32_e32 v45, 0xffff0000, v40
	v_lshlrev_b32_e32 v44, 16, v40
	v_pk_mul_f32 v[44:45], v[6:7], v[44:45]
	v_add_f32_e32 v11, v44, v11
	v_add_f32_e32 v11, v45, v11
	v_and_b32_e32 v45, 0xffff0000, v41
	v_lshlrev_b32_e32 v44, 16, v41
	v_pk_mul_f32 v[40:41], v[8:9], v[44:45]
	v_add_f32_e32 v11, v40, v11
	v_add_f32_e32 v11, v41, v11
	;; [unrolled: 5-line block ×3, first 2 shown]
	v_and_b32_e32 v41, 0xffff0000, v43
	v_lshlrev_b32_e32 v40, 16, v43
	v_pk_mul_f32 v[40:41], v[4:5], v[40:41]
	v_add_f32_e32 v11, v40, v11
	v_add_co_u32_e32 v40, vcc, s31, v37
	v_add_f32_e32 v11, v41, v11
	v_addc_co_u32_e32 v41, vcc, 0, v38, vcc
	global_load_dwordx4 v[38:41], v[40:41], off offset:2048
	s_waitcnt vmcnt(0)
	v_and_b32_e32 v43, 0xffff0000, v38
	v_lshlrev_b32_e32 v42, 16, v38
	v_pk_mul_f32 v[6:7], v[6:7], v[42:43]
	v_add_f32_e32 v6, v6, v17
	v_add_f32_e32 v17, v7, v6
	v_and_b32_e32 v7, 0xffff0000, v39
	v_lshlrev_b32_e32 v6, 16, v39
	v_pk_mul_f32 v[6:7], v[8:9], v[6:7]
	v_add_f32_e32 v6, v6, v17
	v_add_f32_e32 v8, v7, v6
	;; [unrolled: 5-line block ×4, first 2 shown]
	s_cbranch_scc0 .LBB55_1
; %bb.2:
	v_mbcnt_lo_u32_b32 v1, -1, 0
	v_mbcnt_hi_u32_b32 v5, -1, v1
	v_and_b32_e32 v2, 64, v5
	v_xor_b32_e32 v1, 16, v5
	v_add_u32_e32 v6, 64, v2
	v_cmp_lt_i32_e32 vcc, v1, v6
	v_cndmask_b32_e32 v1, v5, v1, vcc
	v_lshlrev_b32_e32 v1, 2, v1
	ds_bpermute_b32 v3, v1, v35
	v_xor_b32_e32 v2, 8, v5
	v_cmp_lt_i32_e32 vcc, v2, v6
	v_cndmask_b32_e32 v2, v5, v2, vcc
	v_lshlrev_b32_e32 v2, 2, v2
	s_waitcnt lgkmcnt(0)
	v_add_f32_e32 v4, v35, v3
	ds_bpermute_b32 v7, v2, v4
	v_xor_b32_e32 v3, 4, v5
	v_cmp_lt_i32_e32 vcc, v3, v6
	v_cndmask_b32_e32 v3, v5, v3, vcc
	v_lshlrev_b32_e32 v3, 2, v3
	s_waitcnt lgkmcnt(0)
	v_add_f32_e32 v7, v4, v7
	;; [unrolled: 7-line block ×4, first 2 shown]
	ds_bpermute_b32 v8, v6, v7
	v_lshrrev_b32_e32 v5, 5, v0
	v_and_b32_e32 v9, 31, v0
	v_cmp_eq_u32_e32 vcc, 0, v9
	v_lshlrev_b32_e32 v5, 2, v5
	s_and_saveexec_b64 s[2:3], vcc
	s_cbranch_execz .LBB55_4
; %bb.3:
	s_waitcnt lgkmcnt(0)
	v_add_f32_e32 v7, v7, v8
	ds_write_b32 v5, v7
.LBB55_4:
	s_or_b64 exec, exec, s[2:3]
	ds_bpermute_b32 v7, v1, v34
	s_waitcnt lgkmcnt(0)
	v_add_f32_e32 v7, v34, v7
	ds_bpermute_b32 v8, v2, v7
	s_waitcnt lgkmcnt(0)
	v_add_f32_e32 v7, v7, v8
	ds_bpermute_b32 v8, v3, v7
	s_waitcnt lgkmcnt(0)
	v_add_f32_e32 v7, v7, v8
	ds_bpermute_b32 v8, v4, v7
	s_waitcnt lgkmcnt(0)
	v_add_f32_e32 v7, v7, v8
	ds_bpermute_b32 v8, v6, v7
	s_and_saveexec_b64 s[2:3], vcc
	s_cbranch_execz .LBB55_6
; %bb.5:
	s_waitcnt lgkmcnt(0)
	v_add_f32_e32 v7, v7, v8
	ds_write_b32 v5, v7 offset:16
.LBB55_6:
	s_or_b64 exec, exec, s[2:3]
	ds_bpermute_b32 v7, v1, v33
	s_waitcnt lgkmcnt(0)
	v_add_f32_e32 v7, v33, v7
	ds_bpermute_b32 v8, v2, v7
	s_waitcnt lgkmcnt(0)
	v_add_f32_e32 v7, v7, v8
	ds_bpermute_b32 v8, v3, v7
	s_waitcnt lgkmcnt(0)
	v_add_f32_e32 v7, v7, v8
	ds_bpermute_b32 v8, v4, v7
	s_waitcnt lgkmcnt(0)
	v_add_f32_e32 v7, v7, v8
	ds_bpermute_b32 v8, v6, v7
	s_and_saveexec_b64 s[2:3], vcc
	s_cbranch_execz .LBB55_8
; %bb.7:
	s_waitcnt lgkmcnt(0)
	v_add_f32_e32 v7, v7, v8
	ds_write_b32 v5, v7 offset:32
.LBB55_8:
	;; [unrolled: 21-line block ×23, first 2 shown]
	s_or_b64 exec, exec, s[2:3]
	v_cmp_eq_u32_e32 vcc, 0, v0
	s_waitcnt lgkmcnt(0)
	s_barrier
	s_and_saveexec_b64 s[2:3], vcc
	s_cbranch_execz .LBB55_52
; %bb.51:
	v_mov_b32_e32 v16, 0
	ds_read_b128 v[0:3], v16
	s_ashr_i32 s7, s6, 31
	ds_read_b128 v[4:7], v16 offset:16
	ds_read_b128 v[8:11], v16 offset:32
	;; [unrolled: 1-line block ×3, first 2 shown]
	s_lshl_b64 s[2:3], s[6:7], 2
	s_add_u32 s0, s0, s2
	s_waitcnt lgkmcnt(3)
	v_add_f32_e32 v0, 0, v0
	v_add_f32_e32 v0, v0, v1
	;; [unrolled: 1-line block ×4, first 2 shown]
	s_addc_u32 s1, s1, s3
	global_store_dword v16, v0, s[0:1]
	s_waitcnt lgkmcnt(2)
	v_add_f32_e32 v0, 0, v4
	v_add_f32_e32 v0, v0, v5
	v_add_f32_e32 v0, v0, v6
	v_add_f32_e32 v0, v0, v7
	global_store_dword v16, v0, s[0:1] offset:1024
	s_waitcnt lgkmcnt(1)
	v_add_f32_e32 v0, 0, v8
	v_add_f32_e32 v0, v0, v9
	;; [unrolled: 1-line block ×4, first 2 shown]
	global_store_dword v16, v0, s[0:1] offset:2048
	s_waitcnt lgkmcnt(0)
	v_add_f32_e32 v0, 0, v12
	v_add_f32_e32 v4, v0, v13
	ds_read_b128 v[0:3], v16 offset:64
	v_add_f32_e32 v4, v4, v14
	v_add_f32_e32 v4, v4, v15
	global_store_dword v16, v4, s[0:1] offset:3072
	ds_read_b128 v[4:7], v16 offset:80
	s_waitcnt lgkmcnt(1)
	v_add_f32_e32 v0, 0, v0
	v_add_f32_e32 v0, v0, v1
	;; [unrolled: 1-line block ×4, first 2 shown]
	v_mov_b32_e32 v8, 0x1000
	global_store_dword v8, v0, s[0:1]
	s_waitcnt lgkmcnt(0)
	v_add_f32_e32 v0, 0, v4
	v_add_f32_e32 v4, v0, v5
	ds_read_b128 v[0:3], v16 offset:96
	v_add_f32_e32 v4, v4, v6
	v_add_f32_e32 v4, v4, v7
	global_store_dword v8, v4, s[0:1] offset:1024
	ds_read_b128 v[4:7], v16 offset:112
	s_waitcnt lgkmcnt(1)
	v_add_f32_e32 v0, 0, v0
	v_add_f32_e32 v0, v0, v1
	;; [unrolled: 1-line block ×4, first 2 shown]
	global_store_dword v8, v0, s[0:1] offset:2048
	s_waitcnt lgkmcnt(0)
	v_add_f32_e32 v0, 0, v4
	v_add_f32_e32 v4, v0, v5
	ds_read_b128 v[0:3], v16 offset:128
	v_add_f32_e32 v4, v4, v6
	v_add_f32_e32 v4, v4, v7
	global_store_dword v8, v4, s[0:1] offset:3072
	ds_read_b128 v[4:7], v16 offset:144
	s_waitcnt lgkmcnt(1)
	v_add_f32_e32 v0, 0, v0
	v_add_f32_e32 v0, v0, v1
	;; [unrolled: 1-line block ×4, first 2 shown]
	v_mov_b32_e32 v12, 0x2000
	global_store_dword v12, v0, s[0:1]
	ds_read_b128 v[0:3], v16 offset:160
	ds_read_b128 v[8:11], v16 offset:176
	s_waitcnt lgkmcnt(2)
	v_add_f32_e32 v4, 0, v4
	v_add_f32_e32 v4, v4, v5
	v_add_f32_e32 v4, v4, v6
	s_waitcnt lgkmcnt(1)
	v_add_f32_e32 v0, 0, v0
	v_add_f32_e32 v0, v0, v1
	;; [unrolled: 1-line block ×5, first 2 shown]
	global_store_dword v12, v0, s[0:1] offset:2048
	s_waitcnt lgkmcnt(0)
	v_add_f32_e32 v0, 0, v8
	global_store_dword v12, v4, s[0:1] offset:1024
	v_add_f32_e32 v4, v0, v9
	ds_read_b128 v[0:3], v16 offset:192
	v_add_f32_e32 v4, v4, v10
	v_add_f32_e32 v4, v4, v11
	global_store_dword v12, v4, s[0:1] offset:3072
	ds_read_b128 v[4:7], v16 offset:208
	s_waitcnt lgkmcnt(1)
	v_add_f32_e32 v0, 0, v0
	v_add_f32_e32 v0, v0, v1
	;; [unrolled: 1-line block ×4, first 2 shown]
	v_mov_b32_e32 v8, 0x3000
	global_store_dword v8, v0, s[0:1]
	s_waitcnt lgkmcnt(0)
	v_add_f32_e32 v0, 0, v4
	v_add_f32_e32 v4, v0, v5
	ds_read_b128 v[0:3], v16 offset:224
	v_add_f32_e32 v4, v4, v6
	v_add_f32_e32 v4, v4, v7
	global_store_dword v8, v4, s[0:1] offset:1024
	ds_read_b128 v[4:7], v16 offset:240
	s_waitcnt lgkmcnt(1)
	v_add_f32_e32 v0, 0, v0
	v_add_f32_e32 v0, v0, v1
	;; [unrolled: 1-line block ×4, first 2 shown]
	global_store_dword v8, v0, s[0:1] offset:2048
	s_waitcnt lgkmcnt(0)
	v_add_f32_e32 v0, 0, v4
	v_add_f32_e32 v4, v0, v5
	ds_read_b128 v[0:3], v16 offset:256
	v_add_f32_e32 v4, v4, v6
	v_add_f32_e32 v4, v4, v7
	global_store_dword v8, v4, s[0:1] offset:3072
	ds_read_b128 v[4:7], v16 offset:272
	s_waitcnt lgkmcnt(1)
	v_add_f32_e32 v0, 0, v0
	v_add_f32_e32 v0, v0, v1
	;; [unrolled: 1-line block ×4, first 2 shown]
	v_mov_b32_e32 v12, 0x4000
	global_store_dword v12, v0, s[0:1]
	ds_read_b128 v[0:3], v16 offset:288
	ds_read_b128 v[8:11], v16 offset:304
	s_waitcnt lgkmcnt(2)
	v_add_f32_e32 v4, 0, v4
	v_add_f32_e32 v4, v4, v5
	v_add_f32_e32 v4, v4, v6
	s_waitcnt lgkmcnt(1)
	v_add_f32_e32 v0, 0, v0
	v_add_f32_e32 v0, v0, v1
	;; [unrolled: 1-line block ×5, first 2 shown]
	global_store_dword v12, v0, s[0:1] offset:2048
	s_waitcnt lgkmcnt(0)
	v_add_f32_e32 v0, 0, v8
	global_store_dword v12, v4, s[0:1] offset:1024
	v_add_f32_e32 v4, v0, v9
	ds_read_b128 v[0:3], v16 offset:320
	v_add_f32_e32 v4, v4, v10
	v_add_f32_e32 v4, v4, v11
	global_store_dword v12, v4, s[0:1] offset:3072
	ds_read_b128 v[4:7], v16 offset:336
	s_waitcnt lgkmcnt(1)
	v_add_f32_e32 v0, 0, v0
	v_add_f32_e32 v0, v0, v1
	;; [unrolled: 1-line block ×4, first 2 shown]
	v_mov_b32_e32 v8, 0x5000
	global_store_dword v8, v0, s[0:1]
	s_waitcnt lgkmcnt(0)
	v_add_f32_e32 v0, 0, v4
	v_add_f32_e32 v4, v0, v5
	ds_read_b128 v[0:3], v16 offset:352
	v_add_f32_e32 v4, v4, v6
	v_add_f32_e32 v4, v4, v7
	global_store_dword v8, v4, s[0:1] offset:1024
	ds_read_b128 v[4:7], v16 offset:368
	s_waitcnt lgkmcnt(1)
	v_add_f32_e32 v0, 0, v0
	v_add_f32_e32 v0, v0, v1
	;; [unrolled: 1-line block ×4, first 2 shown]
	global_store_dword v8, v0, s[0:1] offset:2048
	s_waitcnt lgkmcnt(0)
	v_add_f32_e32 v0, 0, v4
	v_add_f32_e32 v0, v0, v5
	;; [unrolled: 1-line block ×4, first 2 shown]
	global_store_dword v8, v0, s[0:1] offset:3072
.LBB55_52:
	s_endpgm
	.section	.rodata,"a",@progbits
	.p2align	6, 0x0
	.amdhsa_kernel _Z23fp32_router_gemm_kernelI14__hip_bfloat16Li128ELi24ELi256ELi3072EEvPfPKT_PKf
		.amdhsa_group_segment_fixed_size 384
		.amdhsa_private_segment_fixed_size 0
		.amdhsa_kernarg_size 24
		.amdhsa_user_sgpr_count 6
		.amdhsa_user_sgpr_private_segment_buffer 1
		.amdhsa_user_sgpr_dispatch_ptr 0
		.amdhsa_user_sgpr_queue_ptr 0
		.amdhsa_user_sgpr_kernarg_segment_ptr 1
		.amdhsa_user_sgpr_dispatch_id 0
		.amdhsa_user_sgpr_flat_scratch_init 0
		.amdhsa_user_sgpr_kernarg_preload_length 0
		.amdhsa_user_sgpr_kernarg_preload_offset 0
		.amdhsa_user_sgpr_private_segment_size 0
		.amdhsa_uses_dynamic_stack 0
		.amdhsa_system_sgpr_private_segment_wavefront_offset 0
		.amdhsa_system_sgpr_workgroup_id_x 1
		.amdhsa_system_sgpr_workgroup_id_y 0
		.amdhsa_system_sgpr_workgroup_id_z 0
		.amdhsa_system_sgpr_workgroup_info 0
		.amdhsa_system_vgpr_workitem_id 0
		.amdhsa_next_free_vgpr 46
		.amdhsa_next_free_sgpr 32
		.amdhsa_accum_offset 48
		.amdhsa_reserve_vcc 1
		.amdhsa_reserve_flat_scratch 0
		.amdhsa_float_round_mode_32 0
		.amdhsa_float_round_mode_16_64 0
		.amdhsa_float_denorm_mode_32 3
		.amdhsa_float_denorm_mode_16_64 3
		.amdhsa_dx10_clamp 1
		.amdhsa_ieee_mode 1
		.amdhsa_fp16_overflow 0
		.amdhsa_tg_split 0
		.amdhsa_exception_fp_ieee_invalid_op 0
		.amdhsa_exception_fp_denorm_src 0
		.amdhsa_exception_fp_ieee_div_zero 0
		.amdhsa_exception_fp_ieee_overflow 0
		.amdhsa_exception_fp_ieee_underflow 0
		.amdhsa_exception_fp_ieee_inexact 0
		.amdhsa_exception_int_div_zero 0
	.end_amdhsa_kernel
	.section	.text._Z23fp32_router_gemm_kernelI14__hip_bfloat16Li128ELi24ELi256ELi3072EEvPfPKT_PKf,"axG",@progbits,_Z23fp32_router_gemm_kernelI14__hip_bfloat16Li128ELi24ELi256ELi3072EEvPfPKT_PKf,comdat
.Lfunc_end55:
	.size	_Z23fp32_router_gemm_kernelI14__hip_bfloat16Li128ELi24ELi256ELi3072EEvPfPKT_PKf, .Lfunc_end55-_Z23fp32_router_gemm_kernelI14__hip_bfloat16Li128ELi24ELi256ELi3072EEvPfPKT_PKf
                                        ; -- End function
	.section	.AMDGPU.csdata,"",@progbits
; Kernel info:
; codeLenInByte = 7032
; NumSgprs: 36
; NumVgprs: 46
; NumAgprs: 0
; TotalNumVgprs: 46
; ScratchSize: 0
; MemoryBound: 0
; FloatMode: 240
; IeeeMode: 1
; LDSByteSize: 384 bytes/workgroup (compile time only)
; SGPRBlocks: 4
; VGPRBlocks: 5
; NumSGPRsForWavesPerEU: 36
; NumVGPRsForWavesPerEU: 46
; AccumOffset: 48
; Occupancy: 8
; WaveLimiterHint : 1
; COMPUTE_PGM_RSRC2:SCRATCH_EN: 0
; COMPUTE_PGM_RSRC2:USER_SGPR: 6
; COMPUTE_PGM_RSRC2:TRAP_HANDLER: 0
; COMPUTE_PGM_RSRC2:TGID_X_EN: 1
; COMPUTE_PGM_RSRC2:TGID_Y_EN: 0
; COMPUTE_PGM_RSRC2:TGID_Z_EN: 0
; COMPUTE_PGM_RSRC2:TIDIG_COMP_CNT: 0
; COMPUTE_PGM_RSRC3_GFX90A:ACCUM_OFFSET: 11
; COMPUTE_PGM_RSRC3_GFX90A:TG_SPLIT: 0
	.section	.text._Z23fp32_router_gemm_kernelI14__hip_bfloat16Li128ELi25ELi256ELi3072EEvPfPKT_PKf,"axG",@progbits,_Z23fp32_router_gemm_kernelI14__hip_bfloat16Li128ELi25ELi256ELi3072EEvPfPKT_PKf,comdat
	.protected	_Z23fp32_router_gemm_kernelI14__hip_bfloat16Li128ELi25ELi256ELi3072EEvPfPKT_PKf ; -- Begin function _Z23fp32_router_gemm_kernelI14__hip_bfloat16Li128ELi25ELi256ELi3072EEvPfPKT_PKf
	.globl	_Z23fp32_router_gemm_kernelI14__hip_bfloat16Li128ELi25ELi256ELi3072EEvPfPKT_PKf
	.p2align	8
	.type	_Z23fp32_router_gemm_kernelI14__hip_bfloat16Li128ELi25ELi256ELi3072EEvPfPKT_PKf,@function
_Z23fp32_router_gemm_kernelI14__hip_bfloat16Li128ELi25ELi256ELi3072EEvPfPKT_PKf: ; @_Z23fp32_router_gemm_kernelI14__hip_bfloat16Li128ELi25ELi256ELi3072EEvPfPKT_PKf
; %bb.0:
	s_load_dwordx4 s[0:3], s[4:5], 0x0
	s_load_dwordx2 s[8:9], s[4:5], 0x10
	s_mul_i32 s4, s6, 0xc00
	s_ashr_i32 s5, s4, 31
	s_lshl_b64 s[4:5], s[4:5], 2
	v_lshlrev_b32_e32 v10, 3, v0
	s_waitcnt lgkmcnt(0)
	s_add_u32 s4, s8, s4
	v_or_b32_e32 v1, 0x400, v10
	v_or_b32_e32 v12, 0x800, v10
	s_addc_u32 s5, s9, s5
	s_mov_b64 s[8:9], 0
	v_mov_b32_e32 v36, 0
	v_mov_b32_e32 v37, s3
	s_movk_i32 s7, 0x1000
	s_movk_i32 s10, 0x3000
	;; [unrolled: 1-line block ×5, first 2 shown]
	s_mov_b32 s14, 0x9000
	s_mov_b32 s15, 0xa000
	;; [unrolled: 1-line block ×19, first 2 shown]
	v_mov_b32_e32 v35, 0
	v_mov_b32_e32 v34, 0
	;; [unrolled: 1-line block ×24, first 2 shown]
.LBB56_1:                               ; =>This Inner Loop Header: Depth=1
	s_cmp_eq_u32 s8, 1
	s_cselect_b64 vcc, -1, 0
	s_cmp_eq_u32 s8, 2
	v_cndmask_b32_e32 v2, v10, v1, vcc
	s_cselect_b64 vcc, -1, 0
	v_cndmask_b32_e32 v2, v2, v12, vcc
	v_lshlrev_b32_e32 v44, 2, v2
	v_lshlrev_b32_e32 v45, 1, v2
	global_load_dwordx4 v[2:5], v44, s[4:5] offset:16
	global_load_dwordx4 v[6:9], v44, s[4:5]
	global_load_dwordx4 v[40:43], v45, s[2:3]
	v_add_co_u32_e32 v38, vcc, s2, v45
	v_addc_co_u32_e32 v39, vcc, 0, v37, vcc
	s_add_u32 s8, s8, 1
	s_addc_u32 s9, s9, 0
	s_cmp_eq_u32 s8, 3
	s_waitcnt vmcnt(0)
	v_and_b32_e32 v45, 0xffff0000, v40
	v_lshlrev_b32_e32 v44, 16, v40
	v_pk_mul_f32 v[44:45], v[6:7], v[44:45]
	v_add_f32_e32 v36, v44, v36
	v_add_f32_e32 v36, v45, v36
	v_and_b32_e32 v45, 0xffff0000, v41
	v_lshlrev_b32_e32 v44, 16, v41
	v_pk_mul_f32 v[40:41], v[8:9], v[44:45]
	v_add_f32_e32 v36, v40, v36
	v_add_f32_e32 v36, v41, v36
	v_and_b32_e32 v41, 0xffff0000, v42
	v_lshlrev_b32_e32 v40, 16, v42
	v_pk_mul_f32 v[40:41], v[2:3], v[40:41]
	v_add_f32_e32 v36, v40, v36
	v_add_f32_e32 v36, v41, v36
	v_and_b32_e32 v41, 0xffff0000, v43
	v_lshlrev_b32_e32 v40, 16, v43
	v_pk_mul_f32 v[40:41], v[4:5], v[40:41]
	v_add_f32_e32 v36, v40, v36
	v_add_co_u32_e32 v40, vcc, s7, v38
	v_add_f32_e32 v36, v41, v36
	v_addc_co_u32_e32 v41, vcc, 0, v39, vcc
	global_load_dwordx4 v[40:43], v[40:41], off offset:2048
	s_waitcnt vmcnt(0)
	v_and_b32_e32 v45, 0xffff0000, v40
	v_lshlrev_b32_e32 v44, 16, v40
	v_pk_mul_f32 v[44:45], v[6:7], v[44:45]
	v_add_f32_e32 v35, v44, v35
	v_add_f32_e32 v35, v45, v35
	v_and_b32_e32 v45, 0xffff0000, v41
	v_lshlrev_b32_e32 v44, 16, v41
	v_pk_mul_f32 v[40:41], v[8:9], v[44:45]
	v_add_f32_e32 v35, v40, v35
	v_add_f32_e32 v35, v41, v35
	v_and_b32_e32 v41, 0xffff0000, v42
	v_lshlrev_b32_e32 v40, 16, v42
	v_pk_mul_f32 v[40:41], v[2:3], v[40:41]
	v_add_f32_e32 v35, v40, v35
	v_add_f32_e32 v35, v41, v35
	v_and_b32_e32 v41, 0xffff0000, v43
	v_lshlrev_b32_e32 v40, 16, v43
	v_pk_mul_f32 v[40:41], v[4:5], v[40:41]
	v_add_f32_e32 v35, v40, v35
	v_add_co_u32_e32 v40, vcc, s10, v38
	v_add_f32_e32 v35, v41, v35
	v_addc_co_u32_e32 v41, vcc, 0, v39, vcc
	global_load_dwordx4 v[40:43], v[40:41], off
	s_waitcnt vmcnt(0)
	v_and_b32_e32 v45, 0xffff0000, v40
	v_lshlrev_b32_e32 v44, 16, v40
	v_pk_mul_f32 v[44:45], v[6:7], v[44:45]
	v_add_f32_e32 v34, v44, v34
	v_add_f32_e32 v34, v45, v34
	v_and_b32_e32 v45, 0xffff0000, v41
	v_lshlrev_b32_e32 v44, 16, v41
	v_pk_mul_f32 v[40:41], v[8:9], v[44:45]
	v_add_f32_e32 v34, v40, v34
	v_add_f32_e32 v34, v41, v34
	v_and_b32_e32 v41, 0xffff0000, v42
	v_lshlrev_b32_e32 v40, 16, v42
	v_pk_mul_f32 v[40:41], v[2:3], v[40:41]
	v_add_f32_e32 v34, v40, v34
	v_add_f32_e32 v34, v41, v34
	v_and_b32_e32 v41, 0xffff0000, v43
	v_lshlrev_b32_e32 v40, 16, v43
	v_pk_mul_f32 v[40:41], v[4:5], v[40:41]
	v_add_f32_e32 v34, v40, v34
	v_add_co_u32_e32 v40, vcc, s11, v38
	v_add_f32_e32 v34, v41, v34
	v_addc_co_u32_e32 v41, vcc, 0, v39, vcc
	global_load_dwordx4 v[40:43], v[40:41], off offset:2048
	s_waitcnt vmcnt(0)
	v_and_b32_e32 v45, 0xffff0000, v40
	v_lshlrev_b32_e32 v44, 16, v40
	v_pk_mul_f32 v[44:45], v[6:7], v[44:45]
	v_add_f32_e32 v33, v44, v33
	v_add_f32_e32 v33, v45, v33
	v_and_b32_e32 v45, 0xffff0000, v41
	v_lshlrev_b32_e32 v44, 16, v41
	v_pk_mul_f32 v[40:41], v[8:9], v[44:45]
	v_add_f32_e32 v33, v40, v33
	v_add_f32_e32 v33, v41, v33
	v_and_b32_e32 v41, 0xffff0000, v42
	v_lshlrev_b32_e32 v40, 16, v42
	v_pk_mul_f32 v[40:41], v[2:3], v[40:41]
	v_add_f32_e32 v33, v40, v33
	v_add_f32_e32 v33, v41, v33
	v_and_b32_e32 v41, 0xffff0000, v43
	v_lshlrev_b32_e32 v40, 16, v43
	v_pk_mul_f32 v[40:41], v[4:5], v[40:41]
	v_add_f32_e32 v33, v40, v33
	v_add_co_u32_e32 v40, vcc, s12, v38
	v_add_f32_e32 v33, v41, v33
	v_addc_co_u32_e32 v41, vcc, 0, v39, vcc
	global_load_dwordx4 v[40:43], v[40:41], off
	;; [unrolled: 48-line block ×11, first 2 shown]
	s_waitcnt vmcnt(0)
	v_and_b32_e32 v45, 0xffff0000, v40
	v_lshlrev_b32_e32 v44, 16, v40
	v_pk_mul_f32 v[44:45], v[6:7], v[44:45]
	v_add_f32_e32 v13, v44, v13
	v_add_f32_e32 v13, v45, v13
	v_and_b32_e32 v45, 0xffff0000, v41
	v_lshlrev_b32_e32 v44, 16, v41
	v_pk_mul_f32 v[40:41], v[8:9], v[44:45]
	v_add_f32_e32 v13, v40, v13
	v_add_f32_e32 v13, v41, v13
	;; [unrolled: 5-line block ×3, first 2 shown]
	v_and_b32_e32 v41, 0xffff0000, v43
	v_lshlrev_b32_e32 v40, 16, v43
	v_pk_mul_f32 v[40:41], v[4:5], v[40:41]
	v_add_f32_e32 v13, v40, v13
	v_add_co_u32_e32 v40, vcc, s31, v38
	v_add_f32_e32 v13, v41, v13
	v_addc_co_u32_e32 v41, vcc, 0, v39, vcc
	global_load_dwordx4 v[40:43], v[40:41], off offset:2048
	v_add_co_u32_e32 v38, vcc, s33, v38
	v_addc_co_u32_e32 v39, vcc, 0, v39, vcc
	s_waitcnt vmcnt(0)
	v_and_b32_e32 v45, 0xffff0000, v40
	v_lshlrev_b32_e32 v44, 16, v40
	v_pk_mul_f32 v[44:45], v[6:7], v[44:45]
	v_add_f32_e32 v11, v44, v11
	v_add_f32_e32 v11, v45, v11
	v_and_b32_e32 v45, 0xffff0000, v41
	v_lshlrev_b32_e32 v44, 16, v41
	v_pk_mul_f32 v[40:41], v[8:9], v[44:45]
	v_add_f32_e32 v11, v40, v11
	v_add_f32_e32 v11, v41, v11
	;; [unrolled: 5-line block ×4, first 2 shown]
	global_load_dwordx4 v[38:41], v[38:39], off
	s_waitcnt vmcnt(0)
	v_and_b32_e32 v43, 0xffff0000, v38
	v_lshlrev_b32_e32 v42, 16, v38
	v_pk_mul_f32 v[6:7], v[6:7], v[42:43]
	v_add_f32_e32 v6, v6, v18
	v_add_f32_e32 v18, v7, v6
	v_and_b32_e32 v7, 0xffff0000, v39
	v_lshlrev_b32_e32 v6, 16, v39
	v_pk_mul_f32 v[6:7], v[8:9], v[6:7]
	v_add_f32_e32 v6, v6, v18
	v_add_f32_e32 v8, v7, v6
	;; [unrolled: 5-line block ×4, first 2 shown]
	s_cbranch_scc0 .LBB56_1
; %bb.2:
	v_mbcnt_lo_u32_b32 v1, -1, 0
	v_mbcnt_hi_u32_b32 v5, -1, v1
	v_and_b32_e32 v2, 64, v5
	v_xor_b32_e32 v1, 16, v5
	v_add_u32_e32 v6, 64, v2
	v_cmp_lt_i32_e32 vcc, v1, v6
	v_cndmask_b32_e32 v1, v5, v1, vcc
	v_lshlrev_b32_e32 v1, 2, v1
	ds_bpermute_b32 v3, v1, v36
	v_xor_b32_e32 v2, 8, v5
	v_cmp_lt_i32_e32 vcc, v2, v6
	v_cndmask_b32_e32 v2, v5, v2, vcc
	v_lshlrev_b32_e32 v2, 2, v2
	s_waitcnt lgkmcnt(0)
	v_add_f32_e32 v4, v36, v3
	ds_bpermute_b32 v7, v2, v4
	v_xor_b32_e32 v3, 4, v5
	v_cmp_lt_i32_e32 vcc, v3, v6
	v_cndmask_b32_e32 v3, v5, v3, vcc
	v_lshlrev_b32_e32 v3, 2, v3
	s_waitcnt lgkmcnt(0)
	v_add_f32_e32 v7, v4, v7
	ds_bpermute_b32 v8, v3, v7
	v_xor_b32_e32 v4, 2, v5
	v_cmp_lt_i32_e32 vcc, v4, v6
	v_cndmask_b32_e32 v4, v5, v4, vcc
	v_lshlrev_b32_e32 v4, 2, v4
	s_waitcnt lgkmcnt(0)
	v_add_f32_e32 v7, v7, v8
	ds_bpermute_b32 v8, v4, v7
	v_xor_b32_e32 v9, 1, v5
	v_cmp_lt_i32_e32 vcc, v9, v6
	v_cndmask_b32_e32 v5, v5, v9, vcc
	v_lshlrev_b32_e32 v6, 2, v5
	s_waitcnt lgkmcnt(0)
	v_add_f32_e32 v7, v7, v8
	ds_bpermute_b32 v8, v6, v7
	v_lshrrev_b32_e32 v5, 5, v0
	v_and_b32_e32 v9, 31, v0
	v_cmp_eq_u32_e32 vcc, 0, v9
	v_lshlrev_b32_e32 v5, 2, v5
	s_and_saveexec_b64 s[2:3], vcc
	s_cbranch_execz .LBB56_4
; %bb.3:
	s_waitcnt lgkmcnt(0)
	v_add_f32_e32 v7, v7, v8
	ds_write_b32 v5, v7
.LBB56_4:
	s_or_b64 exec, exec, s[2:3]
	ds_bpermute_b32 v7, v1, v35
	s_waitcnt lgkmcnt(0)
	v_add_f32_e32 v7, v35, v7
	ds_bpermute_b32 v8, v2, v7
	s_waitcnt lgkmcnt(0)
	v_add_f32_e32 v7, v7, v8
	ds_bpermute_b32 v8, v3, v7
	s_waitcnt lgkmcnt(0)
	v_add_f32_e32 v7, v7, v8
	ds_bpermute_b32 v8, v4, v7
	s_waitcnt lgkmcnt(0)
	v_add_f32_e32 v7, v7, v8
	ds_bpermute_b32 v8, v6, v7
	s_and_saveexec_b64 s[2:3], vcc
	s_cbranch_execz .LBB56_6
; %bb.5:
	s_waitcnt lgkmcnt(0)
	v_add_f32_e32 v7, v7, v8
	ds_write_b32 v5, v7 offset:16
.LBB56_6:
	s_or_b64 exec, exec, s[2:3]
	ds_bpermute_b32 v7, v1, v34
	s_waitcnt lgkmcnt(0)
	v_add_f32_e32 v7, v34, v7
	ds_bpermute_b32 v8, v2, v7
	s_waitcnt lgkmcnt(0)
	v_add_f32_e32 v7, v7, v8
	ds_bpermute_b32 v8, v3, v7
	s_waitcnt lgkmcnt(0)
	v_add_f32_e32 v7, v7, v8
	ds_bpermute_b32 v8, v4, v7
	s_waitcnt lgkmcnt(0)
	v_add_f32_e32 v7, v7, v8
	ds_bpermute_b32 v8, v6, v7
	s_and_saveexec_b64 s[2:3], vcc
	s_cbranch_execz .LBB56_8
; %bb.7:
	s_waitcnt lgkmcnt(0)
	v_add_f32_e32 v7, v7, v8
	ds_write_b32 v5, v7 offset:32
.LBB56_8:
	;; [unrolled: 21-line block ×24, first 2 shown]
	s_or_b64 exec, exec, s[2:3]
	v_cmp_eq_u32_e32 vcc, 0, v0
	s_waitcnt lgkmcnt(0)
	s_barrier
	s_and_saveexec_b64 s[2:3], vcc
	s_cbranch_execz .LBB56_54
; %bb.53:
	v_mov_b32_e32 v16, 0
	ds_read_b128 v[0:3], v16
	s_ashr_i32 s7, s6, 31
	ds_read_b128 v[4:7], v16 offset:16
	ds_read_b128 v[8:11], v16 offset:32
	;; [unrolled: 1-line block ×3, first 2 shown]
	s_lshl_b64 s[2:3], s[6:7], 2
	s_add_u32 s0, s0, s2
	s_waitcnt lgkmcnt(3)
	v_add_f32_e32 v0, 0, v0
	v_add_f32_e32 v0, v0, v1
	;; [unrolled: 1-line block ×4, first 2 shown]
	s_addc_u32 s1, s1, s3
	global_store_dword v16, v0, s[0:1]
	s_waitcnt lgkmcnt(2)
	v_add_f32_e32 v0, 0, v4
	v_add_f32_e32 v0, v0, v5
	;; [unrolled: 1-line block ×4, first 2 shown]
	global_store_dword v16, v0, s[0:1] offset:1024
	s_waitcnt lgkmcnt(1)
	v_add_f32_e32 v0, 0, v8
	v_add_f32_e32 v0, v0, v9
	;; [unrolled: 1-line block ×4, first 2 shown]
	global_store_dword v16, v0, s[0:1] offset:2048
	s_waitcnt lgkmcnt(0)
	v_add_f32_e32 v0, 0, v12
	v_add_f32_e32 v4, v0, v13
	ds_read_b128 v[0:3], v16 offset:64
	v_add_f32_e32 v4, v4, v14
	v_add_f32_e32 v4, v4, v15
	global_store_dword v16, v4, s[0:1] offset:3072
	ds_read_b128 v[4:7], v16 offset:80
	s_waitcnt lgkmcnt(1)
	v_add_f32_e32 v0, 0, v0
	v_add_f32_e32 v0, v0, v1
	;; [unrolled: 1-line block ×4, first 2 shown]
	v_mov_b32_e32 v8, 0x1000
	global_store_dword v8, v0, s[0:1]
	s_waitcnt lgkmcnt(0)
	v_add_f32_e32 v0, 0, v4
	v_add_f32_e32 v4, v0, v5
	ds_read_b128 v[0:3], v16 offset:96
	v_add_f32_e32 v4, v4, v6
	v_add_f32_e32 v4, v4, v7
	global_store_dword v8, v4, s[0:1] offset:1024
	ds_read_b128 v[4:7], v16 offset:112
	s_waitcnt lgkmcnt(1)
	v_add_f32_e32 v0, 0, v0
	v_add_f32_e32 v0, v0, v1
	;; [unrolled: 1-line block ×4, first 2 shown]
	global_store_dword v8, v0, s[0:1] offset:2048
	s_waitcnt lgkmcnt(0)
	v_add_f32_e32 v0, 0, v4
	v_add_f32_e32 v4, v0, v5
	ds_read_b128 v[0:3], v16 offset:128
	v_add_f32_e32 v4, v4, v6
	v_add_f32_e32 v4, v4, v7
	global_store_dword v8, v4, s[0:1] offset:3072
	ds_read_b128 v[4:7], v16 offset:144
	s_waitcnt lgkmcnt(1)
	v_add_f32_e32 v0, 0, v0
	v_add_f32_e32 v0, v0, v1
	;; [unrolled: 1-line block ×4, first 2 shown]
	v_mov_b32_e32 v12, 0x2000
	global_store_dword v12, v0, s[0:1]
	ds_read_b128 v[0:3], v16 offset:160
	ds_read_b128 v[8:11], v16 offset:176
	s_waitcnt lgkmcnt(2)
	v_add_f32_e32 v4, 0, v4
	v_add_f32_e32 v4, v4, v5
	;; [unrolled: 1-line block ×3, first 2 shown]
	s_waitcnt lgkmcnt(1)
	v_add_f32_e32 v0, 0, v0
	v_add_f32_e32 v0, v0, v1
	;; [unrolled: 1-line block ×5, first 2 shown]
	global_store_dword v12, v0, s[0:1] offset:2048
	s_waitcnt lgkmcnt(0)
	v_add_f32_e32 v0, 0, v8
	global_store_dword v12, v4, s[0:1] offset:1024
	v_add_f32_e32 v4, v0, v9
	ds_read_b128 v[0:3], v16 offset:192
	v_add_f32_e32 v4, v4, v10
	v_add_f32_e32 v4, v4, v11
	global_store_dword v12, v4, s[0:1] offset:3072
	ds_read_b128 v[4:7], v16 offset:208
	s_waitcnt lgkmcnt(1)
	v_add_f32_e32 v0, 0, v0
	v_add_f32_e32 v0, v0, v1
	;; [unrolled: 1-line block ×4, first 2 shown]
	v_mov_b32_e32 v8, 0x3000
	global_store_dword v8, v0, s[0:1]
	s_waitcnt lgkmcnt(0)
	v_add_f32_e32 v0, 0, v4
	v_add_f32_e32 v4, v0, v5
	ds_read_b128 v[0:3], v16 offset:224
	v_add_f32_e32 v4, v4, v6
	v_add_f32_e32 v4, v4, v7
	global_store_dword v8, v4, s[0:1] offset:1024
	ds_read_b128 v[4:7], v16 offset:240
	s_waitcnt lgkmcnt(1)
	v_add_f32_e32 v0, 0, v0
	v_add_f32_e32 v0, v0, v1
	;; [unrolled: 1-line block ×4, first 2 shown]
	global_store_dword v8, v0, s[0:1] offset:2048
	s_waitcnt lgkmcnt(0)
	v_add_f32_e32 v0, 0, v4
	v_add_f32_e32 v4, v0, v5
	ds_read_b128 v[0:3], v16 offset:256
	v_add_f32_e32 v4, v4, v6
	v_add_f32_e32 v4, v4, v7
	global_store_dword v8, v4, s[0:1] offset:3072
	ds_read_b128 v[4:7], v16 offset:272
	s_waitcnt lgkmcnt(1)
	v_add_f32_e32 v0, 0, v0
	v_add_f32_e32 v0, v0, v1
	;; [unrolled: 1-line block ×4, first 2 shown]
	v_mov_b32_e32 v12, 0x4000
	global_store_dword v12, v0, s[0:1]
	ds_read_b128 v[0:3], v16 offset:288
	ds_read_b128 v[8:11], v16 offset:304
	s_waitcnt lgkmcnt(2)
	v_add_f32_e32 v4, 0, v4
	v_add_f32_e32 v4, v4, v5
	;; [unrolled: 1-line block ×3, first 2 shown]
	s_waitcnt lgkmcnt(1)
	v_add_f32_e32 v0, 0, v0
	v_add_f32_e32 v0, v0, v1
	;; [unrolled: 1-line block ×5, first 2 shown]
	global_store_dword v12, v0, s[0:1] offset:2048
	s_waitcnt lgkmcnt(0)
	v_add_f32_e32 v0, 0, v8
	global_store_dword v12, v4, s[0:1] offset:1024
	v_add_f32_e32 v4, v0, v9
	ds_read_b128 v[0:3], v16 offset:320
	v_add_f32_e32 v4, v4, v10
	v_add_f32_e32 v4, v4, v11
	global_store_dword v12, v4, s[0:1] offset:3072
	ds_read_b128 v[4:7], v16 offset:336
	s_waitcnt lgkmcnt(1)
	v_add_f32_e32 v0, 0, v0
	v_add_f32_e32 v0, v0, v1
	;; [unrolled: 1-line block ×4, first 2 shown]
	v_mov_b32_e32 v8, 0x5000
	global_store_dword v8, v0, s[0:1]
	s_waitcnt lgkmcnt(0)
	v_add_f32_e32 v0, 0, v4
	v_add_f32_e32 v4, v0, v5
	ds_read_b128 v[0:3], v16 offset:352
	v_add_f32_e32 v4, v4, v6
	v_add_f32_e32 v4, v4, v7
	global_store_dword v8, v4, s[0:1] offset:1024
	ds_read_b128 v[4:7], v16 offset:368
	s_waitcnt lgkmcnt(1)
	v_add_f32_e32 v0, 0, v0
	v_add_f32_e32 v0, v0, v1
	;; [unrolled: 1-line block ×4, first 2 shown]
	global_store_dword v8, v0, s[0:1] offset:2048
	ds_read_b128 v[0:3], v16 offset:384
	s_waitcnt lgkmcnt(1)
	v_add_f32_e32 v4, 0, v4
	v_add_f32_e32 v4, v4, v5
	;; [unrolled: 1-line block ×4, first 2 shown]
	s_waitcnt lgkmcnt(0)
	v_add_f32_e32 v0, 0, v0
	v_add_f32_e32 v0, v0, v1
	;; [unrolled: 1-line block ×4, first 2 shown]
	v_mov_b32_e32 v1, 0x6000
	global_store_dword v8, v4, s[0:1] offset:3072
	global_store_dword v1, v0, s[0:1]
.LBB56_54:
	s_endpgm
	.section	.rodata,"a",@progbits
	.p2align	6, 0x0
	.amdhsa_kernel _Z23fp32_router_gemm_kernelI14__hip_bfloat16Li128ELi25ELi256ELi3072EEvPfPKT_PKf
		.amdhsa_group_segment_fixed_size 400
		.amdhsa_private_segment_fixed_size 0
		.amdhsa_kernarg_size 24
		.amdhsa_user_sgpr_count 6
		.amdhsa_user_sgpr_private_segment_buffer 1
		.amdhsa_user_sgpr_dispatch_ptr 0
		.amdhsa_user_sgpr_queue_ptr 0
		.amdhsa_user_sgpr_kernarg_segment_ptr 1
		.amdhsa_user_sgpr_dispatch_id 0
		.amdhsa_user_sgpr_flat_scratch_init 0
		.amdhsa_user_sgpr_kernarg_preload_length 0
		.amdhsa_user_sgpr_kernarg_preload_offset 0
		.amdhsa_user_sgpr_private_segment_size 0
		.amdhsa_uses_dynamic_stack 0
		.amdhsa_system_sgpr_private_segment_wavefront_offset 0
		.amdhsa_system_sgpr_workgroup_id_x 1
		.amdhsa_system_sgpr_workgroup_id_y 0
		.amdhsa_system_sgpr_workgroup_id_z 0
		.amdhsa_system_sgpr_workgroup_info 0
		.amdhsa_system_vgpr_workitem_id 0
		.amdhsa_next_free_vgpr 46
		.amdhsa_next_free_sgpr 34
		.amdhsa_accum_offset 48
		.amdhsa_reserve_vcc 1
		.amdhsa_reserve_flat_scratch 0
		.amdhsa_float_round_mode_32 0
		.amdhsa_float_round_mode_16_64 0
		.amdhsa_float_denorm_mode_32 3
		.amdhsa_float_denorm_mode_16_64 3
		.amdhsa_dx10_clamp 1
		.amdhsa_ieee_mode 1
		.amdhsa_fp16_overflow 0
		.amdhsa_tg_split 0
		.amdhsa_exception_fp_ieee_invalid_op 0
		.amdhsa_exception_fp_denorm_src 0
		.amdhsa_exception_fp_ieee_div_zero 0
		.amdhsa_exception_fp_ieee_overflow 0
		.amdhsa_exception_fp_ieee_underflow 0
		.amdhsa_exception_fp_ieee_inexact 0
		.amdhsa_exception_int_div_zero 0
	.end_amdhsa_kernel
	.section	.text._Z23fp32_router_gemm_kernelI14__hip_bfloat16Li128ELi25ELi256ELi3072EEvPfPKT_PKf,"axG",@progbits,_Z23fp32_router_gemm_kernelI14__hip_bfloat16Li128ELi25ELi256ELi3072EEvPfPKT_PKf,comdat
.Lfunc_end56:
	.size	_Z23fp32_router_gemm_kernelI14__hip_bfloat16Li128ELi25ELi256ELi3072EEvPfPKT_PKf, .Lfunc_end56-_Z23fp32_router_gemm_kernelI14__hip_bfloat16Li128ELi25ELi256ELi3072EEvPfPKT_PKf
                                        ; -- End function
	.section	.AMDGPU.csdata,"",@progbits
; Kernel info:
; codeLenInByte = 7320
; NumSgprs: 38
; NumVgprs: 46
; NumAgprs: 0
; TotalNumVgprs: 46
; ScratchSize: 0
; MemoryBound: 0
; FloatMode: 240
; IeeeMode: 1
; LDSByteSize: 400 bytes/workgroup (compile time only)
; SGPRBlocks: 4
; VGPRBlocks: 5
; NumSGPRsForWavesPerEU: 38
; NumVGPRsForWavesPerEU: 46
; AccumOffset: 48
; Occupancy: 8
; WaveLimiterHint : 1
; COMPUTE_PGM_RSRC2:SCRATCH_EN: 0
; COMPUTE_PGM_RSRC2:USER_SGPR: 6
; COMPUTE_PGM_RSRC2:TRAP_HANDLER: 0
; COMPUTE_PGM_RSRC2:TGID_X_EN: 1
; COMPUTE_PGM_RSRC2:TGID_Y_EN: 0
; COMPUTE_PGM_RSRC2:TGID_Z_EN: 0
; COMPUTE_PGM_RSRC2:TIDIG_COMP_CNT: 0
; COMPUTE_PGM_RSRC3_GFX90A:ACCUM_OFFSET: 11
; COMPUTE_PGM_RSRC3_GFX90A:TG_SPLIT: 0
	.section	.text._Z23fp32_router_gemm_kernelI14__hip_bfloat16Li128ELi26ELi256ELi3072EEvPfPKT_PKf,"axG",@progbits,_Z23fp32_router_gemm_kernelI14__hip_bfloat16Li128ELi26ELi256ELi3072EEvPfPKT_PKf,comdat
	.protected	_Z23fp32_router_gemm_kernelI14__hip_bfloat16Li128ELi26ELi256ELi3072EEvPfPKT_PKf ; -- Begin function _Z23fp32_router_gemm_kernelI14__hip_bfloat16Li128ELi26ELi256ELi3072EEvPfPKT_PKf
	.globl	_Z23fp32_router_gemm_kernelI14__hip_bfloat16Li128ELi26ELi256ELi3072EEvPfPKT_PKf
	.p2align	8
	.type	_Z23fp32_router_gemm_kernelI14__hip_bfloat16Li128ELi26ELi256ELi3072EEvPfPKT_PKf,@function
_Z23fp32_router_gemm_kernelI14__hip_bfloat16Li128ELi26ELi256ELi3072EEvPfPKT_PKf: ; @_Z23fp32_router_gemm_kernelI14__hip_bfloat16Li128ELi26ELi256ELi3072EEvPfPKT_PKf
; %bb.0:
	s_load_dwordx4 s[0:3], s[4:5], 0x0
	s_load_dwordx2 s[8:9], s[4:5], 0x10
	s_mul_i32 s4, s6, 0xc00
	s_ashr_i32 s5, s4, 31
	s_lshl_b64 s[4:5], s[4:5], 2
	v_lshlrev_b32_e32 v10, 3, v0
	s_waitcnt lgkmcnt(0)
	s_add_u32 s4, s8, s4
	v_or_b32_e32 v1, 0x400, v10
	v_or_b32_e32 v12, 0x800, v10
	s_addc_u32 s5, s9, s5
	s_mov_b64 s[8:9], 0
	v_mov_b32_e32 v36, 0
	v_mov_b32_e32 v38, s3
	s_movk_i32 s7, 0x1000
	s_movk_i32 s10, 0x3000
	;; [unrolled: 1-line block ×5, first 2 shown]
	s_mov_b32 s14, 0x9000
	s_mov_b32 s15, 0xa000
	;; [unrolled: 1-line block ×20, first 2 shown]
	v_mov_b32_e32 v37, 0
	v_mov_b32_e32 v35, 0
	;; [unrolled: 1-line block ×25, first 2 shown]
.LBB57_1:                               ; =>This Inner Loop Header: Depth=1
	s_cmp_eq_u32 s8, 1
	s_cselect_b64 vcc, -1, 0
	s_cmp_eq_u32 s8, 2
	v_cndmask_b32_e32 v2, v10, v1, vcc
	s_cselect_b64 vcc, -1, 0
	v_cndmask_b32_e32 v2, v2, v12, vcc
	v_lshlrev_b32_e32 v41, 2, v2
	v_lshlrev_b32_e32 v46, 1, v2
	global_load_dwordx4 v[2:5], v41, s[4:5] offset:16
	global_load_dwordx4 v[6:9], v41, s[4:5]
	global_load_dwordx4 v[42:45], v46, s[2:3]
	v_add_co_u32_e32 v39, vcc, s2, v46
	v_addc_co_u32_e32 v40, vcc, 0, v38, vcc
	s_add_u32 s8, s8, 1
	s_addc_u32 s9, s9, 0
	s_cmp_eq_u32 s8, 3
	s_waitcnt vmcnt(0)
	v_and_b32_e32 v47, 0xffff0000, v42
	v_lshlrev_b32_e32 v46, 16, v42
	v_pk_mul_f32 v[46:47], v[6:7], v[46:47]
	v_add_f32_e32 v36, v46, v36
	v_add_f32_e32 v36, v47, v36
	v_and_b32_e32 v47, 0xffff0000, v43
	v_lshlrev_b32_e32 v46, 16, v43
	v_pk_mul_f32 v[42:43], v[8:9], v[46:47]
	v_add_f32_e32 v36, v42, v36
	v_add_f32_e32 v36, v43, v36
	v_and_b32_e32 v43, 0xffff0000, v44
	v_lshlrev_b32_e32 v42, 16, v44
	v_pk_mul_f32 v[42:43], v[2:3], v[42:43]
	v_add_f32_e32 v36, v42, v36
	v_add_f32_e32 v36, v43, v36
	v_and_b32_e32 v43, 0xffff0000, v45
	v_lshlrev_b32_e32 v42, 16, v45
	v_pk_mul_f32 v[42:43], v[4:5], v[42:43]
	v_add_f32_e32 v36, v42, v36
	v_add_co_u32_e32 v42, vcc, s7, v39
	v_add_f32_e32 v36, v43, v36
	v_addc_co_u32_e32 v43, vcc, 0, v40, vcc
	global_load_dwordx4 v[42:45], v[42:43], off offset:2048
	s_waitcnt vmcnt(0)
	v_and_b32_e32 v47, 0xffff0000, v42
	v_lshlrev_b32_e32 v46, 16, v42
	v_pk_mul_f32 v[46:47], v[6:7], v[46:47]
	v_add_f32_e32 v37, v46, v37
	v_add_f32_e32 v37, v47, v37
	v_and_b32_e32 v47, 0xffff0000, v43
	v_lshlrev_b32_e32 v46, 16, v43
	v_pk_mul_f32 v[42:43], v[8:9], v[46:47]
	v_add_f32_e32 v37, v42, v37
	v_add_f32_e32 v37, v43, v37
	v_and_b32_e32 v43, 0xffff0000, v44
	v_lshlrev_b32_e32 v42, 16, v44
	v_pk_mul_f32 v[42:43], v[2:3], v[42:43]
	v_add_f32_e32 v37, v42, v37
	v_add_f32_e32 v37, v43, v37
	v_and_b32_e32 v43, 0xffff0000, v45
	v_lshlrev_b32_e32 v42, 16, v45
	v_pk_mul_f32 v[42:43], v[4:5], v[42:43]
	v_add_f32_e32 v37, v42, v37
	v_add_co_u32_e32 v42, vcc, s10, v39
	v_add_f32_e32 v37, v43, v37
	v_addc_co_u32_e32 v43, vcc, 0, v40, vcc
	global_load_dwordx4 v[42:45], v[42:43], off
	s_waitcnt vmcnt(0)
	v_and_b32_e32 v47, 0xffff0000, v42
	v_lshlrev_b32_e32 v46, 16, v42
	v_pk_mul_f32 v[46:47], v[6:7], v[46:47]
	v_add_f32_e32 v35, v46, v35
	v_add_f32_e32 v35, v47, v35
	v_and_b32_e32 v47, 0xffff0000, v43
	v_lshlrev_b32_e32 v46, 16, v43
	v_pk_mul_f32 v[42:43], v[8:9], v[46:47]
	v_add_f32_e32 v35, v42, v35
	v_add_f32_e32 v35, v43, v35
	v_and_b32_e32 v43, 0xffff0000, v44
	v_lshlrev_b32_e32 v42, 16, v44
	v_pk_mul_f32 v[42:43], v[2:3], v[42:43]
	v_add_f32_e32 v35, v42, v35
	v_add_f32_e32 v35, v43, v35
	v_and_b32_e32 v43, 0xffff0000, v45
	v_lshlrev_b32_e32 v42, 16, v45
	v_pk_mul_f32 v[42:43], v[4:5], v[42:43]
	v_add_f32_e32 v35, v42, v35
	v_add_co_u32_e32 v42, vcc, s11, v39
	v_add_f32_e32 v35, v43, v35
	v_addc_co_u32_e32 v43, vcc, 0, v40, vcc
	global_load_dwordx4 v[42:45], v[42:43], off offset:2048
	s_waitcnt vmcnt(0)
	v_and_b32_e32 v47, 0xffff0000, v42
	v_lshlrev_b32_e32 v46, 16, v42
	v_pk_mul_f32 v[46:47], v[6:7], v[46:47]
	v_add_f32_e32 v34, v46, v34
	v_add_f32_e32 v34, v47, v34
	v_and_b32_e32 v47, 0xffff0000, v43
	v_lshlrev_b32_e32 v46, 16, v43
	v_pk_mul_f32 v[42:43], v[8:9], v[46:47]
	v_add_f32_e32 v34, v42, v34
	v_add_f32_e32 v34, v43, v34
	v_and_b32_e32 v43, 0xffff0000, v44
	v_lshlrev_b32_e32 v42, 16, v44
	v_pk_mul_f32 v[42:43], v[2:3], v[42:43]
	v_add_f32_e32 v34, v42, v34
	v_add_f32_e32 v34, v43, v34
	v_and_b32_e32 v43, 0xffff0000, v45
	v_lshlrev_b32_e32 v42, 16, v45
	v_pk_mul_f32 v[42:43], v[4:5], v[42:43]
	v_add_f32_e32 v34, v42, v34
	v_add_co_u32_e32 v42, vcc, s12, v39
	v_add_f32_e32 v34, v43, v34
	v_addc_co_u32_e32 v43, vcc, 0, v40, vcc
	global_load_dwordx4 v[42:45], v[42:43], off
	s_waitcnt vmcnt(0)
	v_and_b32_e32 v47, 0xffff0000, v42
	v_lshlrev_b32_e32 v46, 16, v42
	v_pk_mul_f32 v[46:47], v[6:7], v[46:47]
	v_add_f32_e32 v33, v46, v33
	v_add_f32_e32 v33, v47, v33
	v_and_b32_e32 v47, 0xffff0000, v43
	v_lshlrev_b32_e32 v46, 16, v43
	v_pk_mul_f32 v[42:43], v[8:9], v[46:47]
	v_add_f32_e32 v33, v42, v33
	v_add_f32_e32 v33, v43, v33
	v_and_b32_e32 v43, 0xffff0000, v44
	v_lshlrev_b32_e32 v42, 16, v44
	v_pk_mul_f32 v[42:43], v[2:3], v[42:43]
	v_add_f32_e32 v33, v42, v33
	v_add_f32_e32 v33, v43, v33
	v_and_b32_e32 v43, 0xffff0000, v45
	v_lshlrev_b32_e32 v42, 16, v45
	v_pk_mul_f32 v[42:43], v[4:5], v[42:43]
	v_add_f32_e32 v33, v42, v33
	v_add_co_u32_e32 v42, vcc, s13, v39
	v_add_f32_e32 v33, v43, v33
	v_addc_co_u32_e32 v43, vcc, 0, v40, vcc
	global_load_dwordx4 v[42:45], v[42:43], off offset:2048
	s_waitcnt vmcnt(0)
	v_and_b32_e32 v47, 0xffff0000, v42
	v_lshlrev_b32_e32 v46, 16, v42
	v_pk_mul_f32 v[46:47], v[6:7], v[46:47]
	v_add_f32_e32 v32, v46, v32
	v_add_f32_e32 v32, v47, v32
	v_and_b32_e32 v47, 0xffff0000, v43
	v_lshlrev_b32_e32 v46, 16, v43
	v_pk_mul_f32 v[42:43], v[8:9], v[46:47]
	v_add_f32_e32 v32, v42, v32
	v_add_f32_e32 v32, v43, v32
	v_and_b32_e32 v43, 0xffff0000, v44
	v_lshlrev_b32_e32 v42, 16, v44
	v_pk_mul_f32 v[42:43], v[2:3], v[42:43]
	v_add_f32_e32 v32, v42, v32
	v_add_f32_e32 v32, v43, v32
	v_and_b32_e32 v43, 0xffff0000, v45
	v_lshlrev_b32_e32 v42, 16, v45
	v_pk_mul_f32 v[42:43], v[4:5], v[42:43]
	v_add_f32_e32 v32, v42, v32
	v_add_co_u32_e32 v42, vcc, s14, v39
	v_add_f32_e32 v32, v43, v32
	v_addc_co_u32_e32 v43, vcc, 0, v40, vcc
	global_load_dwordx4 v[42:45], v[42:43], off
	s_waitcnt vmcnt(0)
	v_and_b32_e32 v47, 0xffff0000, v42
	v_lshlrev_b32_e32 v46, 16, v42
	v_pk_mul_f32 v[46:47], v[6:7], v[46:47]
	v_add_f32_e32 v31, v46, v31
	v_add_f32_e32 v31, v47, v31
	v_and_b32_e32 v47, 0xffff0000, v43
	v_lshlrev_b32_e32 v46, 16, v43
	v_pk_mul_f32 v[42:43], v[8:9], v[46:47]
	v_add_f32_e32 v31, v42, v31
	v_add_f32_e32 v31, v43, v31
	v_and_b32_e32 v43, 0xffff0000, v44
	v_lshlrev_b32_e32 v42, 16, v44
	v_pk_mul_f32 v[42:43], v[2:3], v[42:43]
	v_add_f32_e32 v31, v42, v31
	v_add_f32_e32 v31, v43, v31
	v_and_b32_e32 v43, 0xffff0000, v45
	v_lshlrev_b32_e32 v42, 16, v45
	v_pk_mul_f32 v[42:43], v[4:5], v[42:43]
	v_add_f32_e32 v31, v42, v31
	v_add_co_u32_e32 v42, vcc, s15, v39
	v_add_f32_e32 v31, v43, v31
	v_addc_co_u32_e32 v43, vcc, 0, v40, vcc
	global_load_dwordx4 v[42:45], v[42:43], off offset:2048
	s_waitcnt vmcnt(0)
	v_and_b32_e32 v47, 0xffff0000, v42
	v_lshlrev_b32_e32 v46, 16, v42
	v_pk_mul_f32 v[46:47], v[6:7], v[46:47]
	v_add_f32_e32 v30, v46, v30
	v_add_f32_e32 v30, v47, v30
	v_and_b32_e32 v47, 0xffff0000, v43
	v_lshlrev_b32_e32 v46, 16, v43
	v_pk_mul_f32 v[42:43], v[8:9], v[46:47]
	v_add_f32_e32 v30, v42, v30
	v_add_f32_e32 v30, v43, v30
	v_and_b32_e32 v43, 0xffff0000, v44
	v_lshlrev_b32_e32 v42, 16, v44
	v_pk_mul_f32 v[42:43], v[2:3], v[42:43]
	v_add_f32_e32 v30, v42, v30
	v_add_f32_e32 v30, v43, v30
	v_and_b32_e32 v43, 0xffff0000, v45
	v_lshlrev_b32_e32 v42, 16, v45
	v_pk_mul_f32 v[42:43], v[4:5], v[42:43]
	v_add_f32_e32 v30, v42, v30
	v_add_co_u32_e32 v42, vcc, s16, v39
	v_add_f32_e32 v30, v43, v30
	v_addc_co_u32_e32 v43, vcc, 0, v40, vcc
	global_load_dwordx4 v[42:45], v[42:43], off
	s_waitcnt vmcnt(0)
	v_and_b32_e32 v47, 0xffff0000, v42
	v_lshlrev_b32_e32 v46, 16, v42
	v_pk_mul_f32 v[46:47], v[6:7], v[46:47]
	v_add_f32_e32 v29, v46, v29
	v_add_f32_e32 v29, v47, v29
	v_and_b32_e32 v47, 0xffff0000, v43
	v_lshlrev_b32_e32 v46, 16, v43
	v_pk_mul_f32 v[42:43], v[8:9], v[46:47]
	v_add_f32_e32 v29, v42, v29
	v_add_f32_e32 v29, v43, v29
	v_and_b32_e32 v43, 0xffff0000, v44
	v_lshlrev_b32_e32 v42, 16, v44
	v_pk_mul_f32 v[42:43], v[2:3], v[42:43]
	v_add_f32_e32 v29, v42, v29
	v_add_f32_e32 v29, v43, v29
	v_and_b32_e32 v43, 0xffff0000, v45
	v_lshlrev_b32_e32 v42, 16, v45
	v_pk_mul_f32 v[42:43], v[4:5], v[42:43]
	v_add_f32_e32 v29, v42, v29
	v_add_co_u32_e32 v42, vcc, s17, v39
	v_add_f32_e32 v29, v43, v29
	v_addc_co_u32_e32 v43, vcc, 0, v40, vcc
	global_load_dwordx4 v[42:45], v[42:43], off offset:2048
	s_waitcnt vmcnt(0)
	v_and_b32_e32 v47, 0xffff0000, v42
	v_lshlrev_b32_e32 v46, 16, v42
	v_pk_mul_f32 v[46:47], v[6:7], v[46:47]
	v_add_f32_e32 v28, v46, v28
	v_add_f32_e32 v28, v47, v28
	v_and_b32_e32 v47, 0xffff0000, v43
	v_lshlrev_b32_e32 v46, 16, v43
	v_pk_mul_f32 v[42:43], v[8:9], v[46:47]
	v_add_f32_e32 v28, v42, v28
	v_add_f32_e32 v28, v43, v28
	v_and_b32_e32 v43, 0xffff0000, v44
	v_lshlrev_b32_e32 v42, 16, v44
	v_pk_mul_f32 v[42:43], v[2:3], v[42:43]
	v_add_f32_e32 v28, v42, v28
	v_add_f32_e32 v28, v43, v28
	v_and_b32_e32 v43, 0xffff0000, v45
	v_lshlrev_b32_e32 v42, 16, v45
	v_pk_mul_f32 v[42:43], v[4:5], v[42:43]
	v_add_f32_e32 v28, v42, v28
	v_add_co_u32_e32 v42, vcc, s18, v39
	v_add_f32_e32 v28, v43, v28
	v_addc_co_u32_e32 v43, vcc, 0, v40, vcc
	global_load_dwordx4 v[42:45], v[42:43], off
	s_waitcnt vmcnt(0)
	v_and_b32_e32 v47, 0xffff0000, v42
	v_lshlrev_b32_e32 v46, 16, v42
	v_pk_mul_f32 v[46:47], v[6:7], v[46:47]
	v_add_f32_e32 v27, v46, v27
	v_add_f32_e32 v27, v47, v27
	v_and_b32_e32 v47, 0xffff0000, v43
	v_lshlrev_b32_e32 v46, 16, v43
	v_pk_mul_f32 v[42:43], v[8:9], v[46:47]
	v_add_f32_e32 v27, v42, v27
	v_add_f32_e32 v27, v43, v27
	v_and_b32_e32 v43, 0xffff0000, v44
	v_lshlrev_b32_e32 v42, 16, v44
	v_pk_mul_f32 v[42:43], v[2:3], v[42:43]
	v_add_f32_e32 v27, v42, v27
	v_add_f32_e32 v27, v43, v27
	v_and_b32_e32 v43, 0xffff0000, v45
	v_lshlrev_b32_e32 v42, 16, v45
	v_pk_mul_f32 v[42:43], v[4:5], v[42:43]
	v_add_f32_e32 v27, v42, v27
	v_add_co_u32_e32 v42, vcc, s19, v39
	v_add_f32_e32 v27, v43, v27
	v_addc_co_u32_e32 v43, vcc, 0, v40, vcc
	global_load_dwordx4 v[42:45], v[42:43], off offset:2048
	s_waitcnt vmcnt(0)
	v_and_b32_e32 v47, 0xffff0000, v42
	v_lshlrev_b32_e32 v46, 16, v42
	v_pk_mul_f32 v[46:47], v[6:7], v[46:47]
	v_add_f32_e32 v26, v46, v26
	v_add_f32_e32 v26, v47, v26
	v_and_b32_e32 v47, 0xffff0000, v43
	v_lshlrev_b32_e32 v46, 16, v43
	v_pk_mul_f32 v[42:43], v[8:9], v[46:47]
	v_add_f32_e32 v26, v42, v26
	v_add_f32_e32 v26, v43, v26
	v_and_b32_e32 v43, 0xffff0000, v44
	v_lshlrev_b32_e32 v42, 16, v44
	v_pk_mul_f32 v[42:43], v[2:3], v[42:43]
	v_add_f32_e32 v26, v42, v26
	v_add_f32_e32 v26, v43, v26
	v_and_b32_e32 v43, 0xffff0000, v45
	v_lshlrev_b32_e32 v42, 16, v45
	v_pk_mul_f32 v[42:43], v[4:5], v[42:43]
	v_add_f32_e32 v26, v42, v26
	v_add_co_u32_e32 v42, vcc, s20, v39
	v_add_f32_e32 v26, v43, v26
	v_addc_co_u32_e32 v43, vcc, 0, v40, vcc
	global_load_dwordx4 v[42:45], v[42:43], off
	s_waitcnt vmcnt(0)
	v_and_b32_e32 v47, 0xffff0000, v42
	v_lshlrev_b32_e32 v46, 16, v42
	v_pk_mul_f32 v[46:47], v[6:7], v[46:47]
	v_add_f32_e32 v25, v46, v25
	v_add_f32_e32 v25, v47, v25
	v_and_b32_e32 v47, 0xffff0000, v43
	v_lshlrev_b32_e32 v46, 16, v43
	v_pk_mul_f32 v[42:43], v[8:9], v[46:47]
	v_add_f32_e32 v25, v42, v25
	v_add_f32_e32 v25, v43, v25
	v_and_b32_e32 v43, 0xffff0000, v44
	v_lshlrev_b32_e32 v42, 16, v44
	v_pk_mul_f32 v[42:43], v[2:3], v[42:43]
	v_add_f32_e32 v25, v42, v25
	v_add_f32_e32 v25, v43, v25
	v_and_b32_e32 v43, 0xffff0000, v45
	v_lshlrev_b32_e32 v42, 16, v45
	v_pk_mul_f32 v[42:43], v[4:5], v[42:43]
	v_add_f32_e32 v25, v42, v25
	v_add_co_u32_e32 v42, vcc, s21, v39
	v_add_f32_e32 v25, v43, v25
	v_addc_co_u32_e32 v43, vcc, 0, v40, vcc
	global_load_dwordx4 v[42:45], v[42:43], off offset:2048
	s_waitcnt vmcnt(0)
	v_and_b32_e32 v47, 0xffff0000, v42
	v_lshlrev_b32_e32 v46, 16, v42
	v_pk_mul_f32 v[46:47], v[6:7], v[46:47]
	v_add_f32_e32 v24, v46, v24
	v_add_f32_e32 v24, v47, v24
	v_and_b32_e32 v47, 0xffff0000, v43
	v_lshlrev_b32_e32 v46, 16, v43
	v_pk_mul_f32 v[42:43], v[8:9], v[46:47]
	v_add_f32_e32 v24, v42, v24
	v_add_f32_e32 v24, v43, v24
	v_and_b32_e32 v43, 0xffff0000, v44
	v_lshlrev_b32_e32 v42, 16, v44
	v_pk_mul_f32 v[42:43], v[2:3], v[42:43]
	v_add_f32_e32 v24, v42, v24
	v_add_f32_e32 v24, v43, v24
	v_and_b32_e32 v43, 0xffff0000, v45
	v_lshlrev_b32_e32 v42, 16, v45
	v_pk_mul_f32 v[42:43], v[4:5], v[42:43]
	v_add_f32_e32 v24, v42, v24
	v_add_co_u32_e32 v42, vcc, s22, v39
	v_add_f32_e32 v24, v43, v24
	v_addc_co_u32_e32 v43, vcc, 0, v40, vcc
	global_load_dwordx4 v[42:45], v[42:43], off
	s_waitcnt vmcnt(0)
	v_and_b32_e32 v47, 0xffff0000, v42
	v_lshlrev_b32_e32 v46, 16, v42
	v_pk_mul_f32 v[46:47], v[6:7], v[46:47]
	v_add_f32_e32 v23, v46, v23
	v_add_f32_e32 v23, v47, v23
	v_and_b32_e32 v47, 0xffff0000, v43
	v_lshlrev_b32_e32 v46, 16, v43
	v_pk_mul_f32 v[42:43], v[8:9], v[46:47]
	v_add_f32_e32 v23, v42, v23
	v_add_f32_e32 v23, v43, v23
	v_and_b32_e32 v43, 0xffff0000, v44
	v_lshlrev_b32_e32 v42, 16, v44
	v_pk_mul_f32 v[42:43], v[2:3], v[42:43]
	v_add_f32_e32 v23, v42, v23
	v_add_f32_e32 v23, v43, v23
	v_and_b32_e32 v43, 0xffff0000, v45
	v_lshlrev_b32_e32 v42, 16, v45
	v_pk_mul_f32 v[42:43], v[4:5], v[42:43]
	v_add_f32_e32 v23, v42, v23
	v_add_co_u32_e32 v42, vcc, s23, v39
	v_add_f32_e32 v23, v43, v23
	v_addc_co_u32_e32 v43, vcc, 0, v40, vcc
	global_load_dwordx4 v[42:45], v[42:43], off offset:2048
	s_waitcnt vmcnt(0)
	v_and_b32_e32 v47, 0xffff0000, v42
	v_lshlrev_b32_e32 v46, 16, v42
	v_pk_mul_f32 v[46:47], v[6:7], v[46:47]
	v_add_f32_e32 v22, v46, v22
	v_add_f32_e32 v22, v47, v22
	v_and_b32_e32 v47, 0xffff0000, v43
	v_lshlrev_b32_e32 v46, 16, v43
	v_pk_mul_f32 v[42:43], v[8:9], v[46:47]
	v_add_f32_e32 v22, v42, v22
	v_add_f32_e32 v22, v43, v22
	v_and_b32_e32 v43, 0xffff0000, v44
	v_lshlrev_b32_e32 v42, 16, v44
	v_pk_mul_f32 v[42:43], v[2:3], v[42:43]
	v_add_f32_e32 v22, v42, v22
	v_add_f32_e32 v22, v43, v22
	v_and_b32_e32 v43, 0xffff0000, v45
	v_lshlrev_b32_e32 v42, 16, v45
	v_pk_mul_f32 v[42:43], v[4:5], v[42:43]
	v_add_f32_e32 v22, v42, v22
	v_add_co_u32_e32 v42, vcc, s24, v39
	v_add_f32_e32 v22, v43, v22
	v_addc_co_u32_e32 v43, vcc, 0, v40, vcc
	global_load_dwordx4 v[42:45], v[42:43], off
	s_waitcnt vmcnt(0)
	v_and_b32_e32 v47, 0xffff0000, v42
	v_lshlrev_b32_e32 v46, 16, v42
	v_pk_mul_f32 v[46:47], v[6:7], v[46:47]
	v_add_f32_e32 v21, v46, v21
	v_add_f32_e32 v21, v47, v21
	v_and_b32_e32 v47, 0xffff0000, v43
	v_lshlrev_b32_e32 v46, 16, v43
	v_pk_mul_f32 v[42:43], v[8:9], v[46:47]
	v_add_f32_e32 v21, v42, v21
	v_add_f32_e32 v21, v43, v21
	v_and_b32_e32 v43, 0xffff0000, v44
	v_lshlrev_b32_e32 v42, 16, v44
	v_pk_mul_f32 v[42:43], v[2:3], v[42:43]
	v_add_f32_e32 v21, v42, v21
	v_add_f32_e32 v21, v43, v21
	v_and_b32_e32 v43, 0xffff0000, v45
	v_lshlrev_b32_e32 v42, 16, v45
	v_pk_mul_f32 v[42:43], v[4:5], v[42:43]
	v_add_f32_e32 v21, v42, v21
	v_add_co_u32_e32 v42, vcc, s25, v39
	v_add_f32_e32 v21, v43, v21
	v_addc_co_u32_e32 v43, vcc, 0, v40, vcc
	global_load_dwordx4 v[42:45], v[42:43], off offset:2048
	s_waitcnt vmcnt(0)
	v_and_b32_e32 v47, 0xffff0000, v42
	v_lshlrev_b32_e32 v46, 16, v42
	v_pk_mul_f32 v[46:47], v[6:7], v[46:47]
	v_add_f32_e32 v20, v46, v20
	v_add_f32_e32 v20, v47, v20
	v_and_b32_e32 v47, 0xffff0000, v43
	v_lshlrev_b32_e32 v46, 16, v43
	v_pk_mul_f32 v[42:43], v[8:9], v[46:47]
	v_add_f32_e32 v20, v42, v20
	v_add_f32_e32 v20, v43, v20
	v_and_b32_e32 v43, 0xffff0000, v44
	v_lshlrev_b32_e32 v42, 16, v44
	v_pk_mul_f32 v[42:43], v[2:3], v[42:43]
	v_add_f32_e32 v20, v42, v20
	v_add_f32_e32 v20, v43, v20
	v_and_b32_e32 v43, 0xffff0000, v45
	v_lshlrev_b32_e32 v42, 16, v45
	v_pk_mul_f32 v[42:43], v[4:5], v[42:43]
	v_add_f32_e32 v20, v42, v20
	v_add_co_u32_e32 v42, vcc, s26, v39
	v_add_f32_e32 v20, v43, v20
	v_addc_co_u32_e32 v43, vcc, 0, v40, vcc
	global_load_dwordx4 v[42:45], v[42:43], off
	s_waitcnt vmcnt(0)
	v_and_b32_e32 v47, 0xffff0000, v42
	v_lshlrev_b32_e32 v46, 16, v42
	v_pk_mul_f32 v[46:47], v[6:7], v[46:47]
	v_add_f32_e32 v19, v46, v19
	v_add_f32_e32 v19, v47, v19
	v_and_b32_e32 v47, 0xffff0000, v43
	v_lshlrev_b32_e32 v46, 16, v43
	v_pk_mul_f32 v[42:43], v[8:9], v[46:47]
	v_add_f32_e32 v19, v42, v19
	v_add_f32_e32 v19, v43, v19
	v_and_b32_e32 v43, 0xffff0000, v44
	v_lshlrev_b32_e32 v42, 16, v44
	v_pk_mul_f32 v[42:43], v[2:3], v[42:43]
	v_add_f32_e32 v19, v42, v19
	v_add_f32_e32 v19, v43, v19
	v_and_b32_e32 v43, 0xffff0000, v45
	v_lshlrev_b32_e32 v42, 16, v45
	v_pk_mul_f32 v[42:43], v[4:5], v[42:43]
	v_add_f32_e32 v19, v42, v19
	v_add_co_u32_e32 v42, vcc, s27, v39
	v_add_f32_e32 v19, v43, v19
	v_addc_co_u32_e32 v43, vcc, 0, v40, vcc
	global_load_dwordx4 v[42:45], v[42:43], off offset:2048
	s_waitcnt vmcnt(0)
	v_and_b32_e32 v47, 0xffff0000, v42
	v_lshlrev_b32_e32 v46, 16, v42
	v_pk_mul_f32 v[46:47], v[6:7], v[46:47]
	v_add_f32_e32 v17, v46, v17
	v_add_f32_e32 v17, v47, v17
	v_and_b32_e32 v47, 0xffff0000, v43
	v_lshlrev_b32_e32 v46, 16, v43
	v_pk_mul_f32 v[42:43], v[8:9], v[46:47]
	v_add_f32_e32 v17, v42, v17
	v_add_f32_e32 v17, v43, v17
	v_and_b32_e32 v43, 0xffff0000, v44
	v_lshlrev_b32_e32 v42, 16, v44
	v_pk_mul_f32 v[42:43], v[2:3], v[42:43]
	v_add_f32_e32 v17, v42, v17
	v_add_f32_e32 v17, v43, v17
	v_and_b32_e32 v43, 0xffff0000, v45
	v_lshlrev_b32_e32 v42, 16, v45
	v_pk_mul_f32 v[42:43], v[4:5], v[42:43]
	v_add_f32_e32 v17, v42, v17
	v_add_co_u32_e32 v42, vcc, s28, v39
	v_add_f32_e32 v17, v43, v17
	v_addc_co_u32_e32 v43, vcc, 0, v40, vcc
	global_load_dwordx4 v[42:45], v[42:43], off
	s_waitcnt vmcnt(0)
	v_and_b32_e32 v47, 0xffff0000, v42
	v_lshlrev_b32_e32 v46, 16, v42
	v_pk_mul_f32 v[46:47], v[6:7], v[46:47]
	v_add_f32_e32 v16, v46, v16
	v_add_f32_e32 v16, v47, v16
	v_and_b32_e32 v47, 0xffff0000, v43
	v_lshlrev_b32_e32 v46, 16, v43
	v_pk_mul_f32 v[42:43], v[8:9], v[46:47]
	v_add_f32_e32 v16, v42, v16
	v_add_f32_e32 v16, v43, v16
	v_and_b32_e32 v43, 0xffff0000, v44
	v_lshlrev_b32_e32 v42, 16, v44
	v_pk_mul_f32 v[42:43], v[2:3], v[42:43]
	v_add_f32_e32 v16, v42, v16
	v_add_f32_e32 v16, v43, v16
	v_and_b32_e32 v43, 0xffff0000, v45
	v_lshlrev_b32_e32 v42, 16, v45
	v_pk_mul_f32 v[42:43], v[4:5], v[42:43]
	v_add_f32_e32 v16, v42, v16
	v_add_co_u32_e32 v42, vcc, s29, v39
	v_add_f32_e32 v16, v43, v16
	v_addc_co_u32_e32 v43, vcc, 0, v40, vcc
	global_load_dwordx4 v[42:45], v[42:43], off offset:2048
	s_waitcnt vmcnt(0)
	v_and_b32_e32 v47, 0xffff0000, v42
	v_lshlrev_b32_e32 v46, 16, v42
	v_pk_mul_f32 v[46:47], v[6:7], v[46:47]
	v_add_f32_e32 v15, v46, v15
	v_add_f32_e32 v15, v47, v15
	v_and_b32_e32 v47, 0xffff0000, v43
	v_lshlrev_b32_e32 v46, 16, v43
	v_pk_mul_f32 v[42:43], v[8:9], v[46:47]
	v_add_f32_e32 v15, v42, v15
	v_add_f32_e32 v15, v43, v15
	v_and_b32_e32 v43, 0xffff0000, v44
	v_lshlrev_b32_e32 v42, 16, v44
	v_pk_mul_f32 v[42:43], v[2:3], v[42:43]
	v_add_f32_e32 v15, v42, v15
	v_add_f32_e32 v15, v43, v15
	v_and_b32_e32 v43, 0xffff0000, v45
	v_lshlrev_b32_e32 v42, 16, v45
	v_pk_mul_f32 v[42:43], v[4:5], v[42:43]
	v_add_f32_e32 v15, v42, v15
	v_add_co_u32_e32 v42, vcc, s30, v39
	v_add_f32_e32 v15, v43, v15
	v_addc_co_u32_e32 v43, vcc, 0, v40, vcc
	global_load_dwordx4 v[42:45], v[42:43], off
	s_waitcnt vmcnt(0)
	v_and_b32_e32 v47, 0xffff0000, v42
	v_lshlrev_b32_e32 v46, 16, v42
	v_pk_mul_f32 v[46:47], v[6:7], v[46:47]
	v_add_f32_e32 v14, v46, v14
	v_add_f32_e32 v14, v47, v14
	v_and_b32_e32 v47, 0xffff0000, v43
	v_lshlrev_b32_e32 v46, 16, v43
	v_pk_mul_f32 v[42:43], v[8:9], v[46:47]
	v_add_f32_e32 v14, v42, v14
	v_add_f32_e32 v14, v43, v14
	v_and_b32_e32 v43, 0xffff0000, v44
	v_lshlrev_b32_e32 v42, 16, v44
	v_pk_mul_f32 v[42:43], v[2:3], v[42:43]
	v_add_f32_e32 v14, v42, v14
	v_add_f32_e32 v14, v43, v14
	v_and_b32_e32 v43, 0xffff0000, v45
	v_lshlrev_b32_e32 v42, 16, v45
	v_pk_mul_f32 v[42:43], v[4:5], v[42:43]
	v_add_f32_e32 v14, v42, v14
	v_add_co_u32_e32 v42, vcc, s31, v39
	v_add_f32_e32 v14, v43, v14
	v_addc_co_u32_e32 v43, vcc, 0, v40, vcc
	global_load_dwordx4 v[42:45], v[42:43], off offset:2048
	s_waitcnt vmcnt(0)
	v_and_b32_e32 v47, 0xffff0000, v42
	v_lshlrev_b32_e32 v46, 16, v42
	v_pk_mul_f32 v[46:47], v[6:7], v[46:47]
	v_add_f32_e32 v13, v46, v13
	v_add_f32_e32 v13, v47, v13
	v_and_b32_e32 v47, 0xffff0000, v43
	v_lshlrev_b32_e32 v46, 16, v43
	v_pk_mul_f32 v[42:43], v[8:9], v[46:47]
	v_add_f32_e32 v13, v42, v13
	v_add_f32_e32 v13, v43, v13
	v_and_b32_e32 v43, 0xffff0000, v44
	v_lshlrev_b32_e32 v42, 16, v44
	v_pk_mul_f32 v[42:43], v[2:3], v[42:43]
	v_add_f32_e32 v13, v42, v13
	v_add_f32_e32 v13, v43, v13
	v_and_b32_e32 v43, 0xffff0000, v45
	v_lshlrev_b32_e32 v42, 16, v45
	v_pk_mul_f32 v[42:43], v[4:5], v[42:43]
	v_add_f32_e32 v13, v42, v13
	v_add_co_u32_e32 v42, vcc, s33, v39
	v_add_f32_e32 v13, v43, v13
	v_addc_co_u32_e32 v43, vcc, 0, v40, vcc
	global_load_dwordx4 v[42:45], v[42:43], off
	s_waitcnt vmcnt(0)
	v_and_b32_e32 v47, 0xffff0000, v42
	v_lshlrev_b32_e32 v46, 16, v42
	v_pk_mul_f32 v[46:47], v[6:7], v[46:47]
	v_add_f32_e32 v11, v46, v11
	v_add_f32_e32 v11, v47, v11
	v_and_b32_e32 v47, 0xffff0000, v43
	v_lshlrev_b32_e32 v46, 16, v43
	v_pk_mul_f32 v[42:43], v[8:9], v[46:47]
	v_add_f32_e32 v11, v42, v11
	v_add_f32_e32 v11, v43, v11
	;; [unrolled: 5-line block ×3, first 2 shown]
	v_and_b32_e32 v43, 0xffff0000, v45
	v_lshlrev_b32_e32 v42, 16, v45
	v_pk_mul_f32 v[42:43], v[4:5], v[42:43]
	v_add_f32_e32 v11, v42, v11
	v_add_co_u32_e32 v42, vcc, s34, v39
	v_add_f32_e32 v11, v43, v11
	v_addc_co_u32_e32 v43, vcc, 0, v40, vcc
	global_load_dwordx4 v[40:43], v[42:43], off offset:2048
	s_waitcnt vmcnt(0)
	v_and_b32_e32 v45, 0xffff0000, v40
	v_lshlrev_b32_e32 v44, 16, v40
	v_pk_mul_f32 v[6:7], v[6:7], v[44:45]
	v_add_f32_e32 v6, v6, v18
	v_add_f32_e32 v18, v7, v6
	v_and_b32_e32 v7, 0xffff0000, v41
	v_lshlrev_b32_e32 v6, 16, v41
	v_pk_mul_f32 v[6:7], v[8:9], v[6:7]
	v_add_f32_e32 v6, v6, v18
	v_add_f32_e32 v8, v7, v6
	;; [unrolled: 5-line block ×4, first 2 shown]
	s_cbranch_scc0 .LBB57_1
; %bb.2:
	v_mbcnt_lo_u32_b32 v1, -1, 0
	v_mbcnt_hi_u32_b32 v5, -1, v1
	v_and_b32_e32 v2, 64, v5
	v_xor_b32_e32 v1, 16, v5
	v_add_u32_e32 v6, 64, v2
	v_cmp_lt_i32_e32 vcc, v1, v6
	v_cndmask_b32_e32 v1, v5, v1, vcc
	v_lshlrev_b32_e32 v1, 2, v1
	ds_bpermute_b32 v3, v1, v36
	v_xor_b32_e32 v2, 8, v5
	v_cmp_lt_i32_e32 vcc, v2, v6
	v_cndmask_b32_e32 v2, v5, v2, vcc
	v_lshlrev_b32_e32 v2, 2, v2
	s_waitcnt lgkmcnt(0)
	v_add_f32_e32 v4, v36, v3
	ds_bpermute_b32 v7, v2, v4
	v_xor_b32_e32 v3, 4, v5
	v_cmp_lt_i32_e32 vcc, v3, v6
	v_cndmask_b32_e32 v3, v5, v3, vcc
	v_lshlrev_b32_e32 v3, 2, v3
	s_waitcnt lgkmcnt(0)
	v_add_f32_e32 v7, v4, v7
	;; [unrolled: 7-line block ×4, first 2 shown]
	ds_bpermute_b32 v8, v6, v7
	v_lshrrev_b32_e32 v5, 5, v0
	v_and_b32_e32 v9, 31, v0
	v_cmp_eq_u32_e32 vcc, 0, v9
	v_lshlrev_b32_e32 v5, 2, v5
	s_and_saveexec_b64 s[2:3], vcc
	s_cbranch_execz .LBB57_4
; %bb.3:
	s_waitcnt lgkmcnt(0)
	v_add_f32_e32 v7, v7, v8
	ds_write_b32 v5, v7
.LBB57_4:
	s_or_b64 exec, exec, s[2:3]
	ds_bpermute_b32 v7, v1, v37
	s_waitcnt lgkmcnt(0)
	v_add_f32_e32 v7, v37, v7
	ds_bpermute_b32 v8, v2, v7
	s_waitcnt lgkmcnt(0)
	v_add_f32_e32 v7, v7, v8
	ds_bpermute_b32 v8, v3, v7
	s_waitcnt lgkmcnt(0)
	v_add_f32_e32 v7, v7, v8
	ds_bpermute_b32 v8, v4, v7
	s_waitcnt lgkmcnt(0)
	v_add_f32_e32 v7, v7, v8
	ds_bpermute_b32 v8, v6, v7
	s_and_saveexec_b64 s[2:3], vcc
	s_cbranch_execz .LBB57_6
; %bb.5:
	s_waitcnt lgkmcnt(0)
	v_add_f32_e32 v7, v7, v8
	ds_write_b32 v5, v7 offset:16
.LBB57_6:
	s_or_b64 exec, exec, s[2:3]
	ds_bpermute_b32 v7, v1, v35
	s_waitcnt lgkmcnt(0)
	v_add_f32_e32 v7, v35, v7
	ds_bpermute_b32 v8, v2, v7
	s_waitcnt lgkmcnt(0)
	v_add_f32_e32 v7, v7, v8
	ds_bpermute_b32 v8, v3, v7
	s_waitcnt lgkmcnt(0)
	v_add_f32_e32 v7, v7, v8
	ds_bpermute_b32 v8, v4, v7
	s_waitcnt lgkmcnt(0)
	v_add_f32_e32 v7, v7, v8
	ds_bpermute_b32 v8, v6, v7
	s_and_saveexec_b64 s[2:3], vcc
	s_cbranch_execz .LBB57_8
; %bb.7:
	s_waitcnt lgkmcnt(0)
	v_add_f32_e32 v7, v7, v8
	ds_write_b32 v5, v7 offset:32
.LBB57_8:
	;; [unrolled: 21-line block ×25, first 2 shown]
	s_or_b64 exec, exec, s[2:3]
	v_cmp_eq_u32_e32 vcc, 0, v0
	s_waitcnt lgkmcnt(0)
	s_barrier
	s_and_saveexec_b64 s[2:3], vcc
	s_cbranch_execz .LBB57_56
; %bb.55:
	v_mov_b32_e32 v16, 0
	ds_read_b128 v[0:3], v16
	s_ashr_i32 s7, s6, 31
	ds_read_b128 v[4:7], v16 offset:16
	ds_read_b128 v[8:11], v16 offset:32
	;; [unrolled: 1-line block ×3, first 2 shown]
	s_lshl_b64 s[2:3], s[6:7], 2
	s_add_u32 s0, s0, s2
	s_waitcnt lgkmcnt(3)
	v_add_f32_e32 v0, 0, v0
	v_add_f32_e32 v0, v0, v1
	;; [unrolled: 1-line block ×4, first 2 shown]
	s_addc_u32 s1, s1, s3
	global_store_dword v16, v0, s[0:1]
	s_waitcnt lgkmcnt(2)
	v_add_f32_e32 v0, 0, v4
	v_add_f32_e32 v0, v0, v5
	;; [unrolled: 1-line block ×4, first 2 shown]
	global_store_dword v16, v0, s[0:1] offset:1024
	s_waitcnt lgkmcnt(1)
	v_add_f32_e32 v0, 0, v8
	v_add_f32_e32 v0, v0, v9
	;; [unrolled: 1-line block ×4, first 2 shown]
	global_store_dword v16, v0, s[0:1] offset:2048
	s_waitcnt lgkmcnt(0)
	v_add_f32_e32 v0, 0, v12
	v_add_f32_e32 v4, v0, v13
	ds_read_b128 v[0:3], v16 offset:64
	v_add_f32_e32 v4, v4, v14
	v_add_f32_e32 v4, v4, v15
	global_store_dword v16, v4, s[0:1] offset:3072
	ds_read_b128 v[4:7], v16 offset:80
	s_waitcnt lgkmcnt(1)
	v_add_f32_e32 v0, 0, v0
	v_add_f32_e32 v0, v0, v1
	;; [unrolled: 1-line block ×4, first 2 shown]
	v_mov_b32_e32 v8, 0x1000
	global_store_dword v8, v0, s[0:1]
	s_waitcnt lgkmcnt(0)
	v_add_f32_e32 v0, 0, v4
	v_add_f32_e32 v4, v0, v5
	ds_read_b128 v[0:3], v16 offset:96
	v_add_f32_e32 v4, v4, v6
	v_add_f32_e32 v4, v4, v7
	global_store_dword v8, v4, s[0:1] offset:1024
	ds_read_b128 v[4:7], v16 offset:112
	s_waitcnt lgkmcnt(1)
	v_add_f32_e32 v0, 0, v0
	v_add_f32_e32 v0, v0, v1
	;; [unrolled: 1-line block ×4, first 2 shown]
	global_store_dword v8, v0, s[0:1] offset:2048
	s_waitcnt lgkmcnt(0)
	v_add_f32_e32 v0, 0, v4
	v_add_f32_e32 v4, v0, v5
	ds_read_b128 v[0:3], v16 offset:128
	v_add_f32_e32 v4, v4, v6
	v_add_f32_e32 v4, v4, v7
	global_store_dword v8, v4, s[0:1] offset:3072
	ds_read_b128 v[4:7], v16 offset:144
	s_waitcnt lgkmcnt(1)
	v_add_f32_e32 v0, 0, v0
	v_add_f32_e32 v0, v0, v1
	;; [unrolled: 1-line block ×4, first 2 shown]
	v_mov_b32_e32 v12, 0x2000
	global_store_dword v12, v0, s[0:1]
	ds_read_b128 v[0:3], v16 offset:160
	ds_read_b128 v[8:11], v16 offset:176
	s_waitcnt lgkmcnt(2)
	v_add_f32_e32 v4, 0, v4
	v_add_f32_e32 v4, v4, v5
	;; [unrolled: 1-line block ×3, first 2 shown]
	s_waitcnt lgkmcnt(1)
	v_add_f32_e32 v0, 0, v0
	v_add_f32_e32 v0, v0, v1
	;; [unrolled: 1-line block ×5, first 2 shown]
	global_store_dword v12, v0, s[0:1] offset:2048
	s_waitcnt lgkmcnt(0)
	v_add_f32_e32 v0, 0, v8
	global_store_dword v12, v4, s[0:1] offset:1024
	v_add_f32_e32 v4, v0, v9
	ds_read_b128 v[0:3], v16 offset:192
	v_add_f32_e32 v4, v4, v10
	v_add_f32_e32 v4, v4, v11
	global_store_dword v12, v4, s[0:1] offset:3072
	ds_read_b128 v[4:7], v16 offset:208
	s_waitcnt lgkmcnt(1)
	v_add_f32_e32 v0, 0, v0
	v_add_f32_e32 v0, v0, v1
	;; [unrolled: 1-line block ×4, first 2 shown]
	v_mov_b32_e32 v8, 0x3000
	global_store_dword v8, v0, s[0:1]
	s_waitcnt lgkmcnt(0)
	v_add_f32_e32 v0, 0, v4
	v_add_f32_e32 v4, v0, v5
	ds_read_b128 v[0:3], v16 offset:224
	v_add_f32_e32 v4, v4, v6
	v_add_f32_e32 v4, v4, v7
	global_store_dword v8, v4, s[0:1] offset:1024
	ds_read_b128 v[4:7], v16 offset:240
	s_waitcnt lgkmcnt(1)
	v_add_f32_e32 v0, 0, v0
	v_add_f32_e32 v0, v0, v1
	;; [unrolled: 1-line block ×4, first 2 shown]
	global_store_dword v8, v0, s[0:1] offset:2048
	s_waitcnt lgkmcnt(0)
	v_add_f32_e32 v0, 0, v4
	v_add_f32_e32 v4, v0, v5
	ds_read_b128 v[0:3], v16 offset:256
	v_add_f32_e32 v4, v4, v6
	v_add_f32_e32 v4, v4, v7
	global_store_dword v8, v4, s[0:1] offset:3072
	ds_read_b128 v[4:7], v16 offset:272
	s_waitcnt lgkmcnt(1)
	v_add_f32_e32 v0, 0, v0
	v_add_f32_e32 v0, v0, v1
	;; [unrolled: 1-line block ×4, first 2 shown]
	v_mov_b32_e32 v12, 0x4000
	global_store_dword v12, v0, s[0:1]
	ds_read_b128 v[0:3], v16 offset:288
	ds_read_b128 v[8:11], v16 offset:304
	s_waitcnt lgkmcnt(2)
	v_add_f32_e32 v4, 0, v4
	v_add_f32_e32 v4, v4, v5
	;; [unrolled: 1-line block ×3, first 2 shown]
	s_waitcnt lgkmcnt(1)
	v_add_f32_e32 v0, 0, v0
	v_add_f32_e32 v0, v0, v1
	;; [unrolled: 1-line block ×5, first 2 shown]
	global_store_dword v12, v0, s[0:1] offset:2048
	s_waitcnt lgkmcnt(0)
	v_add_f32_e32 v0, 0, v8
	global_store_dword v12, v4, s[0:1] offset:1024
	v_add_f32_e32 v4, v0, v9
	ds_read_b128 v[0:3], v16 offset:320
	v_add_f32_e32 v4, v4, v10
	v_add_f32_e32 v4, v4, v11
	global_store_dword v12, v4, s[0:1] offset:3072
	ds_read_b128 v[4:7], v16 offset:336
	s_waitcnt lgkmcnt(1)
	v_add_f32_e32 v0, 0, v0
	v_add_f32_e32 v0, v0, v1
	;; [unrolled: 1-line block ×4, first 2 shown]
	v_mov_b32_e32 v8, 0x5000
	global_store_dword v8, v0, s[0:1]
	s_waitcnt lgkmcnt(0)
	v_add_f32_e32 v0, 0, v4
	v_add_f32_e32 v4, v0, v5
	ds_read_b128 v[0:3], v16 offset:352
	v_add_f32_e32 v4, v4, v6
	v_add_f32_e32 v4, v4, v7
	global_store_dword v8, v4, s[0:1] offset:1024
	ds_read_b128 v[4:7], v16 offset:368
	s_waitcnt lgkmcnt(1)
	v_add_f32_e32 v0, 0, v0
	v_add_f32_e32 v0, v0, v1
	;; [unrolled: 1-line block ×4, first 2 shown]
	global_store_dword v8, v0, s[0:1] offset:2048
	s_waitcnt lgkmcnt(0)
	v_add_f32_e32 v0, 0, v4
	v_add_f32_e32 v4, v0, v5
	ds_read_b128 v[0:3], v16 offset:384
	v_add_f32_e32 v4, v4, v6
	v_add_f32_e32 v4, v4, v7
	global_store_dword v8, v4, s[0:1] offset:3072
	ds_read_b128 v[4:7], v16 offset:400
	s_waitcnt lgkmcnt(1)
	v_add_f32_e32 v0, 0, v0
	v_add_f32_e32 v0, v0, v1
	;; [unrolled: 1-line block ×4, first 2 shown]
	v_mov_b32_e32 v1, 0x6000
	global_store_dword v1, v0, s[0:1]
	s_waitcnt lgkmcnt(0)
	v_add_f32_e32 v0, 0, v4
	v_add_f32_e32 v0, v0, v5
	;; [unrolled: 1-line block ×4, first 2 shown]
	global_store_dword v1, v0, s[0:1] offset:1024
.LBB57_56:
	s_endpgm
	.section	.rodata,"a",@progbits
	.p2align	6, 0x0
	.amdhsa_kernel _Z23fp32_router_gemm_kernelI14__hip_bfloat16Li128ELi26ELi256ELi3072EEvPfPKT_PKf
		.amdhsa_group_segment_fixed_size 416
		.amdhsa_private_segment_fixed_size 0
		.amdhsa_kernarg_size 24
		.amdhsa_user_sgpr_count 6
		.amdhsa_user_sgpr_private_segment_buffer 1
		.amdhsa_user_sgpr_dispatch_ptr 0
		.amdhsa_user_sgpr_queue_ptr 0
		.amdhsa_user_sgpr_kernarg_segment_ptr 1
		.amdhsa_user_sgpr_dispatch_id 0
		.amdhsa_user_sgpr_flat_scratch_init 0
		.amdhsa_user_sgpr_kernarg_preload_length 0
		.amdhsa_user_sgpr_kernarg_preload_offset 0
		.amdhsa_user_sgpr_private_segment_size 0
		.amdhsa_uses_dynamic_stack 0
		.amdhsa_system_sgpr_private_segment_wavefront_offset 0
		.amdhsa_system_sgpr_workgroup_id_x 1
		.amdhsa_system_sgpr_workgroup_id_y 0
		.amdhsa_system_sgpr_workgroup_id_z 0
		.amdhsa_system_sgpr_workgroup_info 0
		.amdhsa_system_vgpr_workitem_id 0
		.amdhsa_next_free_vgpr 48
		.amdhsa_next_free_sgpr 35
		.amdhsa_accum_offset 48
		.amdhsa_reserve_vcc 1
		.amdhsa_reserve_flat_scratch 0
		.amdhsa_float_round_mode_32 0
		.amdhsa_float_round_mode_16_64 0
		.amdhsa_float_denorm_mode_32 3
		.amdhsa_float_denorm_mode_16_64 3
		.amdhsa_dx10_clamp 1
		.amdhsa_ieee_mode 1
		.amdhsa_fp16_overflow 0
		.amdhsa_tg_split 0
		.amdhsa_exception_fp_ieee_invalid_op 0
		.amdhsa_exception_fp_denorm_src 0
		.amdhsa_exception_fp_ieee_div_zero 0
		.amdhsa_exception_fp_ieee_overflow 0
		.amdhsa_exception_fp_ieee_underflow 0
		.amdhsa_exception_fp_ieee_inexact 0
		.amdhsa_exception_int_div_zero 0
	.end_amdhsa_kernel
	.section	.text._Z23fp32_router_gemm_kernelI14__hip_bfloat16Li128ELi26ELi256ELi3072EEvPfPKT_PKf,"axG",@progbits,_Z23fp32_router_gemm_kernelI14__hip_bfloat16Li128ELi26ELi256ELi3072EEvPfPKT_PKf,comdat
.Lfunc_end57:
	.size	_Z23fp32_router_gemm_kernelI14__hip_bfloat16Li128ELi26ELi256ELi3072EEvPfPKT_PKf, .Lfunc_end57-_Z23fp32_router_gemm_kernelI14__hip_bfloat16Li128ELi26ELi256ELi3072EEvPfPKT_PKf
                                        ; -- End function
	.section	.AMDGPU.csdata,"",@progbits
; Kernel info:
; codeLenInByte = 7600
; NumSgprs: 39
; NumVgprs: 48
; NumAgprs: 0
; TotalNumVgprs: 48
; ScratchSize: 0
; MemoryBound: 0
; FloatMode: 240
; IeeeMode: 1
; LDSByteSize: 416 bytes/workgroup (compile time only)
; SGPRBlocks: 4
; VGPRBlocks: 5
; NumSGPRsForWavesPerEU: 39
; NumVGPRsForWavesPerEU: 48
; AccumOffset: 48
; Occupancy: 8
; WaveLimiterHint : 1
; COMPUTE_PGM_RSRC2:SCRATCH_EN: 0
; COMPUTE_PGM_RSRC2:USER_SGPR: 6
; COMPUTE_PGM_RSRC2:TRAP_HANDLER: 0
; COMPUTE_PGM_RSRC2:TGID_X_EN: 1
; COMPUTE_PGM_RSRC2:TGID_Y_EN: 0
; COMPUTE_PGM_RSRC2:TGID_Z_EN: 0
; COMPUTE_PGM_RSRC2:TIDIG_COMP_CNT: 0
; COMPUTE_PGM_RSRC3_GFX90A:ACCUM_OFFSET: 11
; COMPUTE_PGM_RSRC3_GFX90A:TG_SPLIT: 0
	.section	.text._Z23fp32_router_gemm_kernelI14__hip_bfloat16Li128ELi27ELi256ELi3072EEvPfPKT_PKf,"axG",@progbits,_Z23fp32_router_gemm_kernelI14__hip_bfloat16Li128ELi27ELi256ELi3072EEvPfPKT_PKf,comdat
	.protected	_Z23fp32_router_gemm_kernelI14__hip_bfloat16Li128ELi27ELi256ELi3072EEvPfPKT_PKf ; -- Begin function _Z23fp32_router_gemm_kernelI14__hip_bfloat16Li128ELi27ELi256ELi3072EEvPfPKT_PKf
	.globl	_Z23fp32_router_gemm_kernelI14__hip_bfloat16Li128ELi27ELi256ELi3072EEvPfPKT_PKf
	.p2align	8
	.type	_Z23fp32_router_gemm_kernelI14__hip_bfloat16Li128ELi27ELi256ELi3072EEvPfPKT_PKf,@function
_Z23fp32_router_gemm_kernelI14__hip_bfloat16Li128ELi27ELi256ELi3072EEvPfPKT_PKf: ; @_Z23fp32_router_gemm_kernelI14__hip_bfloat16Li128ELi27ELi256ELi3072EEvPfPKT_PKf
; %bb.0:
	s_load_dwordx4 s[0:3], s[4:5], 0x0
	s_load_dwordx2 s[8:9], s[4:5], 0x10
	s_mul_i32 s4, s6, 0xc00
	s_ashr_i32 s5, s4, 31
	s_lshl_b64 s[4:5], s[4:5], 2
	v_lshlrev_b32_e32 v10, 3, v0
	s_waitcnt lgkmcnt(0)
	s_add_u32 s4, s8, s4
	v_or_b32_e32 v1, 0x400, v10
	v_or_b32_e32 v12, 0x800, v10
	s_addc_u32 s5, s9, s5
	s_mov_b64 s[8:9], 0
	v_mov_b32_e32 v37, 0
	v_mov_b32_e32 v39, s3
	s_movk_i32 s7, 0x1000
	s_movk_i32 s10, 0x3000
	;; [unrolled: 1-line block ×5, first 2 shown]
	s_mov_b32 s14, 0x9000
	s_mov_b32 s15, 0xa000
	;; [unrolled: 1-line block ×21, first 2 shown]
	v_mov_b32_e32 v38, 0
	v_mov_b32_e32 v36, 0
	;; [unrolled: 1-line block ×26, first 2 shown]
.LBB58_1:                               ; =>This Inner Loop Header: Depth=1
	s_cmp_eq_u32 s8, 1
	s_cselect_b64 vcc, -1, 0
	s_cmp_eq_u32 s8, 2
	v_cndmask_b32_e32 v2, v10, v1, vcc
	s_cselect_b64 vcc, -1, 0
	v_cndmask_b32_e32 v2, v2, v12, vcc
	v_lshlrev_b32_e32 v46, 2, v2
	v_lshlrev_b32_e32 v47, 1, v2
	global_load_dwordx4 v[2:5], v46, s[4:5] offset:16
	global_load_dwordx4 v[6:9], v46, s[4:5]
	global_load_dwordx4 v[42:45], v47, s[2:3]
	v_add_co_u32_e32 v40, vcc, s2, v47
	v_addc_co_u32_e32 v41, vcc, 0, v39, vcc
	s_add_u32 s8, s8, 1
	s_addc_u32 s9, s9, 0
	s_cmp_eq_u32 s8, 3
	s_waitcnt vmcnt(0)
	v_and_b32_e32 v47, 0xffff0000, v42
	v_lshlrev_b32_e32 v46, 16, v42
	v_pk_mul_f32 v[46:47], v[6:7], v[46:47]
	v_add_f32_e32 v37, v46, v37
	v_add_f32_e32 v37, v47, v37
	v_and_b32_e32 v47, 0xffff0000, v43
	v_lshlrev_b32_e32 v46, 16, v43
	v_pk_mul_f32 v[42:43], v[8:9], v[46:47]
	v_add_f32_e32 v37, v42, v37
	v_add_f32_e32 v37, v43, v37
	v_and_b32_e32 v43, 0xffff0000, v44
	v_lshlrev_b32_e32 v42, 16, v44
	v_pk_mul_f32 v[42:43], v[2:3], v[42:43]
	v_add_f32_e32 v37, v42, v37
	v_add_f32_e32 v37, v43, v37
	v_and_b32_e32 v43, 0xffff0000, v45
	v_lshlrev_b32_e32 v42, 16, v45
	v_pk_mul_f32 v[42:43], v[4:5], v[42:43]
	v_add_f32_e32 v37, v42, v37
	v_add_co_u32_e32 v42, vcc, s7, v40
	v_add_f32_e32 v37, v43, v37
	v_addc_co_u32_e32 v43, vcc, 0, v41, vcc
	global_load_dwordx4 v[42:45], v[42:43], off offset:2048
	s_waitcnt vmcnt(0)
	v_and_b32_e32 v47, 0xffff0000, v42
	v_lshlrev_b32_e32 v46, 16, v42
	v_pk_mul_f32 v[46:47], v[6:7], v[46:47]
	v_add_f32_e32 v38, v46, v38
	v_add_f32_e32 v38, v47, v38
	v_and_b32_e32 v47, 0xffff0000, v43
	v_lshlrev_b32_e32 v46, 16, v43
	v_pk_mul_f32 v[42:43], v[8:9], v[46:47]
	v_add_f32_e32 v38, v42, v38
	v_add_f32_e32 v38, v43, v38
	v_and_b32_e32 v43, 0xffff0000, v44
	v_lshlrev_b32_e32 v42, 16, v44
	v_pk_mul_f32 v[42:43], v[2:3], v[42:43]
	v_add_f32_e32 v38, v42, v38
	v_add_f32_e32 v38, v43, v38
	v_and_b32_e32 v43, 0xffff0000, v45
	v_lshlrev_b32_e32 v42, 16, v45
	v_pk_mul_f32 v[42:43], v[4:5], v[42:43]
	v_add_f32_e32 v38, v42, v38
	v_add_co_u32_e32 v42, vcc, s10, v40
	v_add_f32_e32 v38, v43, v38
	v_addc_co_u32_e32 v43, vcc, 0, v41, vcc
	global_load_dwordx4 v[42:45], v[42:43], off
	s_waitcnt vmcnt(0)
	v_and_b32_e32 v47, 0xffff0000, v42
	v_lshlrev_b32_e32 v46, 16, v42
	v_pk_mul_f32 v[46:47], v[6:7], v[46:47]
	v_add_f32_e32 v36, v46, v36
	v_add_f32_e32 v36, v47, v36
	v_and_b32_e32 v47, 0xffff0000, v43
	v_lshlrev_b32_e32 v46, 16, v43
	v_pk_mul_f32 v[42:43], v[8:9], v[46:47]
	v_add_f32_e32 v36, v42, v36
	v_add_f32_e32 v36, v43, v36
	v_and_b32_e32 v43, 0xffff0000, v44
	v_lshlrev_b32_e32 v42, 16, v44
	v_pk_mul_f32 v[42:43], v[2:3], v[42:43]
	v_add_f32_e32 v36, v42, v36
	v_add_f32_e32 v36, v43, v36
	v_and_b32_e32 v43, 0xffff0000, v45
	v_lshlrev_b32_e32 v42, 16, v45
	v_pk_mul_f32 v[42:43], v[4:5], v[42:43]
	v_add_f32_e32 v36, v42, v36
	v_add_co_u32_e32 v42, vcc, s11, v40
	v_add_f32_e32 v36, v43, v36
	v_addc_co_u32_e32 v43, vcc, 0, v41, vcc
	global_load_dwordx4 v[42:45], v[42:43], off offset:2048
	s_waitcnt vmcnt(0)
	v_and_b32_e32 v47, 0xffff0000, v42
	v_lshlrev_b32_e32 v46, 16, v42
	v_pk_mul_f32 v[46:47], v[6:7], v[46:47]
	v_add_f32_e32 v35, v46, v35
	v_add_f32_e32 v35, v47, v35
	v_and_b32_e32 v47, 0xffff0000, v43
	v_lshlrev_b32_e32 v46, 16, v43
	v_pk_mul_f32 v[42:43], v[8:9], v[46:47]
	v_add_f32_e32 v35, v42, v35
	v_add_f32_e32 v35, v43, v35
	v_and_b32_e32 v43, 0xffff0000, v44
	v_lshlrev_b32_e32 v42, 16, v44
	v_pk_mul_f32 v[42:43], v[2:3], v[42:43]
	v_add_f32_e32 v35, v42, v35
	v_add_f32_e32 v35, v43, v35
	v_and_b32_e32 v43, 0xffff0000, v45
	v_lshlrev_b32_e32 v42, 16, v45
	v_pk_mul_f32 v[42:43], v[4:5], v[42:43]
	v_add_f32_e32 v35, v42, v35
	v_add_co_u32_e32 v42, vcc, s12, v40
	v_add_f32_e32 v35, v43, v35
	v_addc_co_u32_e32 v43, vcc, 0, v41, vcc
	global_load_dwordx4 v[42:45], v[42:43], off
	;; [unrolled: 48-line block ×12, first 2 shown]
	s_waitcnt vmcnt(0)
	v_and_b32_e32 v47, 0xffff0000, v42
	v_lshlrev_b32_e32 v46, 16, v42
	v_pk_mul_f32 v[46:47], v[6:7], v[46:47]
	v_add_f32_e32 v13, v46, v13
	v_add_f32_e32 v13, v47, v13
	v_and_b32_e32 v47, 0xffff0000, v43
	v_lshlrev_b32_e32 v46, 16, v43
	v_pk_mul_f32 v[42:43], v[8:9], v[46:47]
	v_add_f32_e32 v13, v42, v13
	v_add_f32_e32 v13, v43, v13
	;; [unrolled: 5-line block ×3, first 2 shown]
	v_and_b32_e32 v43, 0xffff0000, v45
	v_lshlrev_b32_e32 v42, 16, v45
	v_pk_mul_f32 v[42:43], v[4:5], v[42:43]
	v_add_f32_e32 v13, v42, v13
	v_add_co_u32_e32 v42, vcc, s34, v40
	v_add_f32_e32 v13, v43, v13
	v_addc_co_u32_e32 v43, vcc, 0, v41, vcc
	global_load_dwordx4 v[42:45], v[42:43], off offset:2048
	v_add_co_u32_e32 v40, vcc, s35, v40
	v_addc_co_u32_e32 v41, vcc, 0, v41, vcc
	s_waitcnt vmcnt(0)
	v_and_b32_e32 v47, 0xffff0000, v42
	v_lshlrev_b32_e32 v46, 16, v42
	v_pk_mul_f32 v[46:47], v[6:7], v[46:47]
	v_add_f32_e32 v11, v46, v11
	v_add_f32_e32 v11, v47, v11
	v_and_b32_e32 v47, 0xffff0000, v43
	v_lshlrev_b32_e32 v46, 16, v43
	v_pk_mul_f32 v[42:43], v[8:9], v[46:47]
	v_add_f32_e32 v11, v42, v11
	v_add_f32_e32 v11, v43, v11
	;; [unrolled: 5-line block ×4, first 2 shown]
	global_load_dwordx4 v[40:43], v[40:41], off
	s_waitcnt vmcnt(0)
	v_and_b32_e32 v45, 0xffff0000, v40
	v_lshlrev_b32_e32 v44, 16, v40
	v_pk_mul_f32 v[6:7], v[6:7], v[44:45]
	v_add_f32_e32 v6, v6, v18
	v_add_f32_e32 v18, v7, v6
	v_and_b32_e32 v7, 0xffff0000, v41
	v_lshlrev_b32_e32 v6, 16, v41
	v_pk_mul_f32 v[6:7], v[8:9], v[6:7]
	v_add_f32_e32 v6, v6, v18
	v_add_f32_e32 v8, v7, v6
	v_and_b32_e32 v7, 0xffff0000, v42
	v_lshlrev_b32_e32 v6, 16, v42
	v_pk_mul_f32 v[2:3], v[2:3], v[6:7]
	v_add_f32_e32 v2, v2, v8
	v_add_f32_e32 v6, v3, v2
	v_and_b32_e32 v3, 0xffff0000, v43
	v_lshlrev_b32_e32 v2, 16, v43
	v_pk_mul_f32 v[2:3], v[4:5], v[2:3]
	v_add_f32_e32 v2, v2, v6
	v_add_f32_e32 v18, v3, v2
	s_cbranch_scc0 .LBB58_1
; %bb.2:
	v_mbcnt_lo_u32_b32 v1, -1, 0
	v_mbcnt_hi_u32_b32 v5, -1, v1
	v_and_b32_e32 v2, 64, v5
	v_xor_b32_e32 v1, 16, v5
	v_add_u32_e32 v6, 64, v2
	v_cmp_lt_i32_e32 vcc, v1, v6
	v_cndmask_b32_e32 v1, v5, v1, vcc
	v_lshlrev_b32_e32 v1, 2, v1
	ds_bpermute_b32 v3, v1, v37
	v_xor_b32_e32 v2, 8, v5
	v_cmp_lt_i32_e32 vcc, v2, v6
	v_cndmask_b32_e32 v2, v5, v2, vcc
	v_lshlrev_b32_e32 v2, 2, v2
	s_waitcnt lgkmcnt(0)
	v_add_f32_e32 v4, v37, v3
	ds_bpermute_b32 v7, v2, v4
	v_xor_b32_e32 v3, 4, v5
	v_cmp_lt_i32_e32 vcc, v3, v6
	v_cndmask_b32_e32 v3, v5, v3, vcc
	v_lshlrev_b32_e32 v3, 2, v3
	s_waitcnt lgkmcnt(0)
	v_add_f32_e32 v7, v4, v7
	;; [unrolled: 7-line block ×4, first 2 shown]
	ds_bpermute_b32 v8, v6, v7
	v_lshrrev_b32_e32 v5, 5, v0
	v_and_b32_e32 v9, 31, v0
	v_cmp_eq_u32_e32 vcc, 0, v9
	v_lshlrev_b32_e32 v5, 2, v5
	s_and_saveexec_b64 s[2:3], vcc
	s_cbranch_execz .LBB58_4
; %bb.3:
	s_waitcnt lgkmcnt(0)
	v_add_f32_e32 v7, v7, v8
	ds_write_b32 v5, v7
.LBB58_4:
	s_or_b64 exec, exec, s[2:3]
	ds_bpermute_b32 v7, v1, v38
	s_waitcnt lgkmcnt(0)
	v_add_f32_e32 v7, v38, v7
	ds_bpermute_b32 v8, v2, v7
	s_waitcnt lgkmcnt(0)
	v_add_f32_e32 v7, v7, v8
	ds_bpermute_b32 v8, v3, v7
	s_waitcnt lgkmcnt(0)
	v_add_f32_e32 v7, v7, v8
	ds_bpermute_b32 v8, v4, v7
	s_waitcnt lgkmcnt(0)
	v_add_f32_e32 v7, v7, v8
	ds_bpermute_b32 v8, v6, v7
	s_and_saveexec_b64 s[2:3], vcc
	s_cbranch_execz .LBB58_6
; %bb.5:
	s_waitcnt lgkmcnt(0)
	v_add_f32_e32 v7, v7, v8
	ds_write_b32 v5, v7 offset:16
.LBB58_6:
	s_or_b64 exec, exec, s[2:3]
	ds_bpermute_b32 v7, v1, v36
	s_waitcnt lgkmcnt(0)
	v_add_f32_e32 v7, v36, v7
	ds_bpermute_b32 v8, v2, v7
	s_waitcnt lgkmcnt(0)
	v_add_f32_e32 v7, v7, v8
	ds_bpermute_b32 v8, v3, v7
	s_waitcnt lgkmcnt(0)
	v_add_f32_e32 v7, v7, v8
	ds_bpermute_b32 v8, v4, v7
	s_waitcnt lgkmcnt(0)
	v_add_f32_e32 v7, v7, v8
	ds_bpermute_b32 v8, v6, v7
	s_and_saveexec_b64 s[2:3], vcc
	s_cbranch_execz .LBB58_8
; %bb.7:
	s_waitcnt lgkmcnt(0)
	v_add_f32_e32 v7, v7, v8
	ds_write_b32 v5, v7 offset:32
.LBB58_8:
	;; [unrolled: 21-line block ×26, first 2 shown]
	s_or_b64 exec, exec, s[2:3]
	v_cmp_eq_u32_e32 vcc, 0, v0
	s_waitcnt lgkmcnt(0)
	s_barrier
	s_and_saveexec_b64 s[2:3], vcc
	s_cbranch_execz .LBB58_58
; %bb.57:
	v_mov_b32_e32 v16, 0
	ds_read_b128 v[0:3], v16
	s_ashr_i32 s7, s6, 31
	ds_read_b128 v[4:7], v16 offset:16
	ds_read_b128 v[8:11], v16 offset:32
	;; [unrolled: 1-line block ×3, first 2 shown]
	s_lshl_b64 s[2:3], s[6:7], 2
	s_add_u32 s0, s0, s2
	s_waitcnt lgkmcnt(3)
	v_add_f32_e32 v0, 0, v0
	v_add_f32_e32 v0, v0, v1
	;; [unrolled: 1-line block ×4, first 2 shown]
	s_addc_u32 s1, s1, s3
	global_store_dword v16, v0, s[0:1]
	s_waitcnt lgkmcnt(2)
	v_add_f32_e32 v0, 0, v4
	v_add_f32_e32 v0, v0, v5
	;; [unrolled: 1-line block ×4, first 2 shown]
	global_store_dword v16, v0, s[0:1] offset:1024
	s_waitcnt lgkmcnt(1)
	v_add_f32_e32 v0, 0, v8
	v_add_f32_e32 v0, v0, v9
	;; [unrolled: 1-line block ×4, first 2 shown]
	global_store_dword v16, v0, s[0:1] offset:2048
	s_waitcnt lgkmcnt(0)
	v_add_f32_e32 v0, 0, v12
	v_add_f32_e32 v4, v0, v13
	ds_read_b128 v[0:3], v16 offset:64
	v_add_f32_e32 v4, v4, v14
	v_add_f32_e32 v4, v4, v15
	global_store_dword v16, v4, s[0:1] offset:3072
	ds_read_b128 v[4:7], v16 offset:80
	s_waitcnt lgkmcnt(1)
	v_add_f32_e32 v0, 0, v0
	v_add_f32_e32 v0, v0, v1
	;; [unrolled: 1-line block ×4, first 2 shown]
	v_mov_b32_e32 v8, 0x1000
	global_store_dword v8, v0, s[0:1]
	s_waitcnt lgkmcnt(0)
	v_add_f32_e32 v0, 0, v4
	v_add_f32_e32 v4, v0, v5
	ds_read_b128 v[0:3], v16 offset:96
	v_add_f32_e32 v4, v4, v6
	v_add_f32_e32 v4, v4, v7
	global_store_dword v8, v4, s[0:1] offset:1024
	ds_read_b128 v[4:7], v16 offset:112
	s_waitcnt lgkmcnt(1)
	v_add_f32_e32 v0, 0, v0
	v_add_f32_e32 v0, v0, v1
	;; [unrolled: 1-line block ×4, first 2 shown]
	global_store_dword v8, v0, s[0:1] offset:2048
	s_waitcnt lgkmcnt(0)
	v_add_f32_e32 v0, 0, v4
	v_add_f32_e32 v4, v0, v5
	ds_read_b128 v[0:3], v16 offset:128
	v_add_f32_e32 v4, v4, v6
	v_add_f32_e32 v4, v4, v7
	global_store_dword v8, v4, s[0:1] offset:3072
	ds_read_b128 v[4:7], v16 offset:144
	s_waitcnt lgkmcnt(1)
	v_add_f32_e32 v0, 0, v0
	v_add_f32_e32 v0, v0, v1
	v_add_f32_e32 v0, v0, v2
	v_add_f32_e32 v0, v0, v3
	v_mov_b32_e32 v12, 0x2000
	global_store_dword v12, v0, s[0:1]
	ds_read_b128 v[0:3], v16 offset:160
	ds_read_b128 v[8:11], v16 offset:176
	s_waitcnt lgkmcnt(2)
	v_add_f32_e32 v4, 0, v4
	v_add_f32_e32 v4, v4, v5
	;; [unrolled: 1-line block ×3, first 2 shown]
	s_waitcnt lgkmcnt(1)
	v_add_f32_e32 v0, 0, v0
	v_add_f32_e32 v0, v0, v1
	v_add_f32_e32 v0, v0, v2
	v_add_f32_e32 v0, v0, v3
	v_add_f32_e32 v4, v4, v7
	global_store_dword v12, v0, s[0:1] offset:2048
	s_waitcnt lgkmcnt(0)
	v_add_f32_e32 v0, 0, v8
	global_store_dword v12, v4, s[0:1] offset:1024
	v_add_f32_e32 v4, v0, v9
	ds_read_b128 v[0:3], v16 offset:192
	v_add_f32_e32 v4, v4, v10
	v_add_f32_e32 v4, v4, v11
	global_store_dword v12, v4, s[0:1] offset:3072
	ds_read_b128 v[4:7], v16 offset:208
	s_waitcnt lgkmcnt(1)
	v_add_f32_e32 v0, 0, v0
	v_add_f32_e32 v0, v0, v1
	;; [unrolled: 1-line block ×4, first 2 shown]
	v_mov_b32_e32 v8, 0x3000
	global_store_dword v8, v0, s[0:1]
	s_waitcnt lgkmcnt(0)
	v_add_f32_e32 v0, 0, v4
	v_add_f32_e32 v4, v0, v5
	ds_read_b128 v[0:3], v16 offset:224
	v_add_f32_e32 v4, v4, v6
	v_add_f32_e32 v4, v4, v7
	global_store_dword v8, v4, s[0:1] offset:1024
	ds_read_b128 v[4:7], v16 offset:240
	s_waitcnt lgkmcnt(1)
	v_add_f32_e32 v0, 0, v0
	v_add_f32_e32 v0, v0, v1
	v_add_f32_e32 v0, v0, v2
	v_add_f32_e32 v0, v0, v3
	global_store_dword v8, v0, s[0:1] offset:2048
	s_waitcnt lgkmcnt(0)
	v_add_f32_e32 v0, 0, v4
	v_add_f32_e32 v4, v0, v5
	ds_read_b128 v[0:3], v16 offset:256
	v_add_f32_e32 v4, v4, v6
	v_add_f32_e32 v4, v4, v7
	global_store_dword v8, v4, s[0:1] offset:3072
	ds_read_b128 v[4:7], v16 offset:272
	s_waitcnt lgkmcnt(1)
	v_add_f32_e32 v0, 0, v0
	v_add_f32_e32 v0, v0, v1
	;; [unrolled: 1-line block ×4, first 2 shown]
	v_mov_b32_e32 v12, 0x4000
	global_store_dword v12, v0, s[0:1]
	ds_read_b128 v[0:3], v16 offset:288
	ds_read_b128 v[8:11], v16 offset:304
	s_waitcnt lgkmcnt(2)
	v_add_f32_e32 v4, 0, v4
	v_add_f32_e32 v4, v4, v5
	v_add_f32_e32 v4, v4, v6
	s_waitcnt lgkmcnt(1)
	v_add_f32_e32 v0, 0, v0
	v_add_f32_e32 v0, v0, v1
	;; [unrolled: 1-line block ×5, first 2 shown]
	global_store_dword v12, v0, s[0:1] offset:2048
	s_waitcnt lgkmcnt(0)
	v_add_f32_e32 v0, 0, v8
	global_store_dword v12, v4, s[0:1] offset:1024
	v_add_f32_e32 v4, v0, v9
	ds_read_b128 v[0:3], v16 offset:320
	v_add_f32_e32 v4, v4, v10
	v_add_f32_e32 v4, v4, v11
	global_store_dword v12, v4, s[0:1] offset:3072
	ds_read_b128 v[4:7], v16 offset:336
	s_waitcnt lgkmcnt(1)
	v_add_f32_e32 v0, 0, v0
	v_add_f32_e32 v0, v0, v1
	;; [unrolled: 1-line block ×4, first 2 shown]
	v_mov_b32_e32 v8, 0x5000
	global_store_dword v8, v0, s[0:1]
	s_waitcnt lgkmcnt(0)
	v_add_f32_e32 v0, 0, v4
	v_add_f32_e32 v4, v0, v5
	ds_read_b128 v[0:3], v16 offset:352
	v_add_f32_e32 v4, v4, v6
	v_add_f32_e32 v4, v4, v7
	global_store_dword v8, v4, s[0:1] offset:1024
	ds_read_b128 v[4:7], v16 offset:368
	s_waitcnt lgkmcnt(1)
	v_add_f32_e32 v0, 0, v0
	v_add_f32_e32 v0, v0, v1
	;; [unrolled: 1-line block ×4, first 2 shown]
	global_store_dword v8, v0, s[0:1] offset:2048
	s_waitcnt lgkmcnt(0)
	v_add_f32_e32 v0, 0, v4
	v_add_f32_e32 v4, v0, v5
	ds_read_b128 v[0:3], v16 offset:384
	v_add_f32_e32 v4, v4, v6
	v_add_f32_e32 v4, v4, v7
	global_store_dword v8, v4, s[0:1] offset:3072
	ds_read_b128 v[4:7], v16 offset:400
	s_waitcnt lgkmcnt(1)
	v_add_f32_e32 v0, 0, v0
	v_add_f32_e32 v0, v0, v1
	;; [unrolled: 1-line block ×4, first 2 shown]
	v_mov_b32_e32 v8, 0x6000
	global_store_dword v8, v0, s[0:1]
	ds_read_b128 v[0:3], v16 offset:416
	s_waitcnt lgkmcnt(1)
	v_add_f32_e32 v4, 0, v4
	v_add_f32_e32 v4, v4, v5
	;; [unrolled: 1-line block ×4, first 2 shown]
	s_waitcnt lgkmcnt(0)
	v_add_f32_e32 v0, 0, v0
	v_add_f32_e32 v0, v0, v1
	;; [unrolled: 1-line block ×4, first 2 shown]
	global_store_dword v8, v4, s[0:1] offset:1024
	global_store_dword v8, v0, s[0:1] offset:2048
.LBB58_58:
	s_endpgm
	.section	.rodata,"a",@progbits
	.p2align	6, 0x0
	.amdhsa_kernel _Z23fp32_router_gemm_kernelI14__hip_bfloat16Li128ELi27ELi256ELi3072EEvPfPKT_PKf
		.amdhsa_group_segment_fixed_size 432
		.amdhsa_private_segment_fixed_size 0
		.amdhsa_kernarg_size 24
		.amdhsa_user_sgpr_count 6
		.amdhsa_user_sgpr_private_segment_buffer 1
		.amdhsa_user_sgpr_dispatch_ptr 0
		.amdhsa_user_sgpr_queue_ptr 0
		.amdhsa_user_sgpr_kernarg_segment_ptr 1
		.amdhsa_user_sgpr_dispatch_id 0
		.amdhsa_user_sgpr_flat_scratch_init 0
		.amdhsa_user_sgpr_kernarg_preload_length 0
		.amdhsa_user_sgpr_kernarg_preload_offset 0
		.amdhsa_user_sgpr_private_segment_size 0
		.amdhsa_uses_dynamic_stack 0
		.amdhsa_system_sgpr_private_segment_wavefront_offset 0
		.amdhsa_system_sgpr_workgroup_id_x 1
		.amdhsa_system_sgpr_workgroup_id_y 0
		.amdhsa_system_sgpr_workgroup_id_z 0
		.amdhsa_system_sgpr_workgroup_info 0
		.amdhsa_system_vgpr_workitem_id 0
		.amdhsa_next_free_vgpr 48
		.amdhsa_next_free_sgpr 36
		.amdhsa_accum_offset 48
		.amdhsa_reserve_vcc 1
		.amdhsa_reserve_flat_scratch 0
		.amdhsa_float_round_mode_32 0
		.amdhsa_float_round_mode_16_64 0
		.amdhsa_float_denorm_mode_32 3
		.amdhsa_float_denorm_mode_16_64 3
		.amdhsa_dx10_clamp 1
		.amdhsa_ieee_mode 1
		.amdhsa_fp16_overflow 0
		.amdhsa_tg_split 0
		.amdhsa_exception_fp_ieee_invalid_op 0
		.amdhsa_exception_fp_denorm_src 0
		.amdhsa_exception_fp_ieee_div_zero 0
		.amdhsa_exception_fp_ieee_overflow 0
		.amdhsa_exception_fp_ieee_underflow 0
		.amdhsa_exception_fp_ieee_inexact 0
		.amdhsa_exception_int_div_zero 0
	.end_amdhsa_kernel
	.section	.text._Z23fp32_router_gemm_kernelI14__hip_bfloat16Li128ELi27ELi256ELi3072EEvPfPKT_PKf,"axG",@progbits,_Z23fp32_router_gemm_kernelI14__hip_bfloat16Li128ELi27ELi256ELi3072EEvPfPKT_PKf,comdat
.Lfunc_end58:
	.size	_Z23fp32_router_gemm_kernelI14__hip_bfloat16Li128ELi27ELi256ELi3072EEvPfPKT_PKf, .Lfunc_end58-_Z23fp32_router_gemm_kernelI14__hip_bfloat16Li128ELi27ELi256ELi3072EEvPfPKT_PKf
                                        ; -- End function
	.section	.AMDGPU.csdata,"",@progbits
; Kernel info:
; codeLenInByte = 7880
; NumSgprs: 40
; NumVgprs: 48
; NumAgprs: 0
; TotalNumVgprs: 48
; ScratchSize: 0
; MemoryBound: 0
; FloatMode: 240
; IeeeMode: 1
; LDSByteSize: 432 bytes/workgroup (compile time only)
; SGPRBlocks: 4
; VGPRBlocks: 5
; NumSGPRsForWavesPerEU: 40
; NumVGPRsForWavesPerEU: 48
; AccumOffset: 48
; Occupancy: 8
; WaveLimiterHint : 1
; COMPUTE_PGM_RSRC2:SCRATCH_EN: 0
; COMPUTE_PGM_RSRC2:USER_SGPR: 6
; COMPUTE_PGM_RSRC2:TRAP_HANDLER: 0
; COMPUTE_PGM_RSRC2:TGID_X_EN: 1
; COMPUTE_PGM_RSRC2:TGID_Y_EN: 0
; COMPUTE_PGM_RSRC2:TGID_Z_EN: 0
; COMPUTE_PGM_RSRC2:TIDIG_COMP_CNT: 0
; COMPUTE_PGM_RSRC3_GFX90A:ACCUM_OFFSET: 11
; COMPUTE_PGM_RSRC3_GFX90A:TG_SPLIT: 0
	.section	.text._Z23fp32_router_gemm_kernelI14__hip_bfloat16Li128ELi28ELi256ELi3072EEvPfPKT_PKf,"axG",@progbits,_Z23fp32_router_gemm_kernelI14__hip_bfloat16Li128ELi28ELi256ELi3072EEvPfPKT_PKf,comdat
	.protected	_Z23fp32_router_gemm_kernelI14__hip_bfloat16Li128ELi28ELi256ELi3072EEvPfPKT_PKf ; -- Begin function _Z23fp32_router_gemm_kernelI14__hip_bfloat16Li128ELi28ELi256ELi3072EEvPfPKT_PKf
	.globl	_Z23fp32_router_gemm_kernelI14__hip_bfloat16Li128ELi28ELi256ELi3072EEvPfPKT_PKf
	.p2align	8
	.type	_Z23fp32_router_gemm_kernelI14__hip_bfloat16Li128ELi28ELi256ELi3072EEvPfPKT_PKf,@function
_Z23fp32_router_gemm_kernelI14__hip_bfloat16Li128ELi28ELi256ELi3072EEvPfPKT_PKf: ; @_Z23fp32_router_gemm_kernelI14__hip_bfloat16Li128ELi28ELi256ELi3072EEvPfPKT_PKf
; %bb.0:
	s_load_dwordx4 s[0:3], s[4:5], 0x0
	s_load_dwordx2 s[8:9], s[4:5], 0x10
	s_mul_i32 s4, s6, 0xc00
	s_ashr_i32 s5, s4, 31
	s_lshl_b64 s[4:5], s[4:5], 2
	v_lshlrev_b32_e32 v10, 3, v0
	s_waitcnt lgkmcnt(0)
	s_add_u32 s4, s8, s4
	v_or_b32_e32 v1, 0x400, v10
	v_or_b32_e32 v12, 0x800, v10
	s_addc_u32 s5, s9, s5
	s_mov_b64 s[8:9], 0
	v_mov_b32_e32 v38, 0
	v_mov_b32_e32 v39, s3
	s_movk_i32 s7, 0x1000
	s_movk_i32 s10, 0x3000
	;; [unrolled: 1-line block ×5, first 2 shown]
	s_mov_b32 s14, 0x9000
	s_mov_b32 s15, 0xa000
	;; [unrolled: 1-line block ×22, first 2 shown]
	v_mov_b32_e32 v40, 0
	v_mov_b32_e32 v37, 0
	;; [unrolled: 1-line block ×27, first 2 shown]
.LBB59_1:                               ; =>This Inner Loop Header: Depth=1
	s_cmp_eq_u32 s8, 1
	s_cselect_b64 vcc, -1, 0
	s_cmp_eq_u32 s8, 2
	v_cndmask_b32_e32 v2, v10, v1, vcc
	s_cselect_b64 vcc, -1, 0
	v_cndmask_b32_e32 v2, v2, v12, vcc
	v_lshlrev_b32_e32 v43, 2, v2
	v_lshlrev_b32_e32 v48, 1, v2
	global_load_dwordx4 v[2:5], v43, s[4:5] offset:16
	global_load_dwordx4 v[6:9], v43, s[4:5]
	global_load_dwordx4 v[44:47], v48, s[2:3]
	v_add_co_u32_e32 v41, vcc, s2, v48
	v_addc_co_u32_e32 v42, vcc, 0, v39, vcc
	s_add_u32 s8, s8, 1
	s_addc_u32 s9, s9, 0
	s_cmp_eq_u32 s8, 3
	s_waitcnt vmcnt(0)
	v_and_b32_e32 v49, 0xffff0000, v44
	v_lshlrev_b32_e32 v48, 16, v44
	v_pk_mul_f32 v[48:49], v[6:7], v[48:49]
	v_add_f32_e32 v38, v48, v38
	v_add_f32_e32 v38, v49, v38
	v_and_b32_e32 v49, 0xffff0000, v45
	v_lshlrev_b32_e32 v48, 16, v45
	v_pk_mul_f32 v[44:45], v[8:9], v[48:49]
	v_add_f32_e32 v38, v44, v38
	v_add_f32_e32 v38, v45, v38
	v_and_b32_e32 v45, 0xffff0000, v46
	v_lshlrev_b32_e32 v44, 16, v46
	v_pk_mul_f32 v[44:45], v[2:3], v[44:45]
	v_add_f32_e32 v38, v44, v38
	v_add_f32_e32 v38, v45, v38
	v_and_b32_e32 v45, 0xffff0000, v47
	v_lshlrev_b32_e32 v44, 16, v47
	v_pk_mul_f32 v[44:45], v[4:5], v[44:45]
	v_add_f32_e32 v38, v44, v38
	v_add_co_u32_e32 v44, vcc, s7, v41
	v_add_f32_e32 v38, v45, v38
	v_addc_co_u32_e32 v45, vcc, 0, v42, vcc
	global_load_dwordx4 v[44:47], v[44:45], off offset:2048
	s_waitcnt vmcnt(0)
	v_and_b32_e32 v49, 0xffff0000, v44
	v_lshlrev_b32_e32 v48, 16, v44
	v_pk_mul_f32 v[48:49], v[6:7], v[48:49]
	v_add_f32_e32 v40, v48, v40
	v_add_f32_e32 v40, v49, v40
	v_and_b32_e32 v49, 0xffff0000, v45
	v_lshlrev_b32_e32 v48, 16, v45
	v_pk_mul_f32 v[44:45], v[8:9], v[48:49]
	v_add_f32_e32 v40, v44, v40
	v_add_f32_e32 v40, v45, v40
	v_and_b32_e32 v45, 0xffff0000, v46
	v_lshlrev_b32_e32 v44, 16, v46
	v_pk_mul_f32 v[44:45], v[2:3], v[44:45]
	v_add_f32_e32 v40, v44, v40
	v_add_f32_e32 v40, v45, v40
	v_and_b32_e32 v45, 0xffff0000, v47
	v_lshlrev_b32_e32 v44, 16, v47
	v_pk_mul_f32 v[44:45], v[4:5], v[44:45]
	v_add_f32_e32 v40, v44, v40
	v_add_co_u32_e32 v44, vcc, s10, v41
	v_add_f32_e32 v40, v45, v40
	v_addc_co_u32_e32 v45, vcc, 0, v42, vcc
	global_load_dwordx4 v[44:47], v[44:45], off
	s_waitcnt vmcnt(0)
	v_and_b32_e32 v49, 0xffff0000, v44
	v_lshlrev_b32_e32 v48, 16, v44
	v_pk_mul_f32 v[48:49], v[6:7], v[48:49]
	v_add_f32_e32 v37, v48, v37
	v_add_f32_e32 v37, v49, v37
	v_and_b32_e32 v49, 0xffff0000, v45
	v_lshlrev_b32_e32 v48, 16, v45
	v_pk_mul_f32 v[44:45], v[8:9], v[48:49]
	v_add_f32_e32 v37, v44, v37
	v_add_f32_e32 v37, v45, v37
	v_and_b32_e32 v45, 0xffff0000, v46
	v_lshlrev_b32_e32 v44, 16, v46
	v_pk_mul_f32 v[44:45], v[2:3], v[44:45]
	v_add_f32_e32 v37, v44, v37
	v_add_f32_e32 v37, v45, v37
	v_and_b32_e32 v45, 0xffff0000, v47
	v_lshlrev_b32_e32 v44, 16, v47
	v_pk_mul_f32 v[44:45], v[4:5], v[44:45]
	v_add_f32_e32 v37, v44, v37
	v_add_co_u32_e32 v44, vcc, s11, v41
	v_add_f32_e32 v37, v45, v37
	v_addc_co_u32_e32 v45, vcc, 0, v42, vcc
	global_load_dwordx4 v[44:47], v[44:45], off offset:2048
	s_waitcnt vmcnt(0)
	v_and_b32_e32 v49, 0xffff0000, v44
	v_lshlrev_b32_e32 v48, 16, v44
	v_pk_mul_f32 v[48:49], v[6:7], v[48:49]
	v_add_f32_e32 v36, v48, v36
	v_add_f32_e32 v36, v49, v36
	v_and_b32_e32 v49, 0xffff0000, v45
	v_lshlrev_b32_e32 v48, 16, v45
	v_pk_mul_f32 v[44:45], v[8:9], v[48:49]
	v_add_f32_e32 v36, v44, v36
	v_add_f32_e32 v36, v45, v36
	v_and_b32_e32 v45, 0xffff0000, v46
	v_lshlrev_b32_e32 v44, 16, v46
	v_pk_mul_f32 v[44:45], v[2:3], v[44:45]
	v_add_f32_e32 v36, v44, v36
	v_add_f32_e32 v36, v45, v36
	v_and_b32_e32 v45, 0xffff0000, v47
	v_lshlrev_b32_e32 v44, 16, v47
	v_pk_mul_f32 v[44:45], v[4:5], v[44:45]
	v_add_f32_e32 v36, v44, v36
	v_add_co_u32_e32 v44, vcc, s12, v41
	v_add_f32_e32 v36, v45, v36
	v_addc_co_u32_e32 v45, vcc, 0, v42, vcc
	global_load_dwordx4 v[44:47], v[44:45], off
	;; [unrolled: 48-line block ×13, first 2 shown]
	s_waitcnt vmcnt(0)
	v_and_b32_e32 v49, 0xffff0000, v44
	v_lshlrev_b32_e32 v48, 16, v44
	v_pk_mul_f32 v[48:49], v[6:7], v[48:49]
	v_add_f32_e32 v11, v48, v11
	v_add_f32_e32 v11, v49, v11
	v_and_b32_e32 v49, 0xffff0000, v45
	v_lshlrev_b32_e32 v48, 16, v45
	v_pk_mul_f32 v[44:45], v[8:9], v[48:49]
	v_add_f32_e32 v11, v44, v11
	v_add_f32_e32 v11, v45, v11
	;; [unrolled: 5-line block ×3, first 2 shown]
	v_and_b32_e32 v45, 0xffff0000, v47
	v_lshlrev_b32_e32 v44, 16, v47
	v_pk_mul_f32 v[44:45], v[4:5], v[44:45]
	v_add_f32_e32 v11, v44, v11
	v_add_co_u32_e32 v44, vcc, s36, v41
	v_add_f32_e32 v11, v45, v11
	v_addc_co_u32_e32 v45, vcc, 0, v42, vcc
	global_load_dwordx4 v[42:45], v[44:45], off offset:2048
	s_waitcnt vmcnt(0)
	v_and_b32_e32 v47, 0xffff0000, v42
	v_lshlrev_b32_e32 v46, 16, v42
	v_pk_mul_f32 v[6:7], v[6:7], v[46:47]
	v_add_f32_e32 v6, v6, v25
	v_add_f32_e32 v25, v7, v6
	v_and_b32_e32 v7, 0xffff0000, v43
	v_lshlrev_b32_e32 v6, 16, v43
	v_pk_mul_f32 v[6:7], v[8:9], v[6:7]
	v_add_f32_e32 v6, v6, v25
	v_add_f32_e32 v8, v7, v6
	;; [unrolled: 5-line block ×4, first 2 shown]
	s_cbranch_scc0 .LBB59_1
; %bb.2:
	v_mbcnt_lo_u32_b32 v1, -1, 0
	v_mbcnt_hi_u32_b32 v5, -1, v1
	v_and_b32_e32 v2, 64, v5
	v_xor_b32_e32 v1, 16, v5
	v_add_u32_e32 v6, 64, v2
	v_cmp_lt_i32_e32 vcc, v1, v6
	v_cndmask_b32_e32 v1, v5, v1, vcc
	v_lshlrev_b32_e32 v1, 2, v1
	ds_bpermute_b32 v3, v1, v38
	v_xor_b32_e32 v2, 8, v5
	v_cmp_lt_i32_e32 vcc, v2, v6
	v_cndmask_b32_e32 v2, v5, v2, vcc
	v_lshlrev_b32_e32 v2, 2, v2
	s_waitcnt lgkmcnt(0)
	v_add_f32_e32 v4, v38, v3
	ds_bpermute_b32 v7, v2, v4
	v_xor_b32_e32 v3, 4, v5
	v_cmp_lt_i32_e32 vcc, v3, v6
	v_cndmask_b32_e32 v3, v5, v3, vcc
	v_lshlrev_b32_e32 v3, 2, v3
	s_waitcnt lgkmcnt(0)
	v_add_f32_e32 v7, v4, v7
	;; [unrolled: 7-line block ×4, first 2 shown]
	ds_bpermute_b32 v8, v6, v7
	v_lshrrev_b32_e32 v5, 5, v0
	v_and_b32_e32 v9, 31, v0
	v_cmp_eq_u32_e32 vcc, 0, v9
	v_lshlrev_b32_e32 v5, 2, v5
	s_and_saveexec_b64 s[2:3], vcc
	s_cbranch_execz .LBB59_4
; %bb.3:
	s_waitcnt lgkmcnt(0)
	v_add_f32_e32 v7, v7, v8
	ds_write_b32 v5, v7
.LBB59_4:
	s_or_b64 exec, exec, s[2:3]
	ds_bpermute_b32 v7, v1, v40
	s_waitcnt lgkmcnt(0)
	v_add_f32_e32 v7, v40, v7
	ds_bpermute_b32 v8, v2, v7
	s_waitcnt lgkmcnt(0)
	v_add_f32_e32 v7, v7, v8
	ds_bpermute_b32 v8, v3, v7
	s_waitcnt lgkmcnt(0)
	v_add_f32_e32 v7, v7, v8
	ds_bpermute_b32 v8, v4, v7
	s_waitcnt lgkmcnt(0)
	v_add_f32_e32 v7, v7, v8
	ds_bpermute_b32 v8, v6, v7
	s_and_saveexec_b64 s[2:3], vcc
	s_cbranch_execz .LBB59_6
; %bb.5:
	s_waitcnt lgkmcnt(0)
	v_add_f32_e32 v7, v7, v8
	ds_write_b32 v5, v7 offset:16
.LBB59_6:
	s_or_b64 exec, exec, s[2:3]
	ds_bpermute_b32 v7, v1, v37
	s_waitcnt lgkmcnt(0)
	v_add_f32_e32 v7, v37, v7
	ds_bpermute_b32 v8, v2, v7
	s_waitcnt lgkmcnt(0)
	v_add_f32_e32 v7, v7, v8
	ds_bpermute_b32 v8, v3, v7
	s_waitcnt lgkmcnt(0)
	v_add_f32_e32 v7, v7, v8
	ds_bpermute_b32 v8, v4, v7
	s_waitcnt lgkmcnt(0)
	v_add_f32_e32 v7, v7, v8
	ds_bpermute_b32 v8, v6, v7
	s_and_saveexec_b64 s[2:3], vcc
	s_cbranch_execz .LBB59_8
; %bb.7:
	s_waitcnt lgkmcnt(0)
	v_add_f32_e32 v7, v7, v8
	ds_write_b32 v5, v7 offset:32
.LBB59_8:
	;; [unrolled: 21-line block ×27, first 2 shown]
	s_or_b64 exec, exec, s[2:3]
	v_cmp_eq_u32_e32 vcc, 0, v0
	s_waitcnt lgkmcnt(0)
	s_barrier
	s_and_saveexec_b64 s[2:3], vcc
	s_cbranch_execz .LBB59_60
; %bb.59:
	v_mov_b32_e32 v16, 0
	ds_read_b128 v[0:3], v16
	s_ashr_i32 s7, s6, 31
	ds_read_b128 v[4:7], v16 offset:16
	ds_read_b128 v[8:11], v16 offset:32
	;; [unrolled: 1-line block ×3, first 2 shown]
	s_lshl_b64 s[2:3], s[6:7], 2
	s_add_u32 s0, s0, s2
	s_waitcnt lgkmcnt(3)
	v_add_f32_e32 v0, 0, v0
	v_add_f32_e32 v0, v0, v1
	;; [unrolled: 1-line block ×4, first 2 shown]
	s_addc_u32 s1, s1, s3
	global_store_dword v16, v0, s[0:1]
	s_waitcnt lgkmcnt(2)
	v_add_f32_e32 v0, 0, v4
	v_add_f32_e32 v0, v0, v5
	;; [unrolled: 1-line block ×4, first 2 shown]
	global_store_dword v16, v0, s[0:1] offset:1024
	s_waitcnt lgkmcnt(1)
	v_add_f32_e32 v0, 0, v8
	v_add_f32_e32 v0, v0, v9
	;; [unrolled: 1-line block ×4, first 2 shown]
	global_store_dword v16, v0, s[0:1] offset:2048
	s_waitcnt lgkmcnt(0)
	v_add_f32_e32 v0, 0, v12
	v_add_f32_e32 v4, v0, v13
	ds_read_b128 v[0:3], v16 offset:64
	v_add_f32_e32 v4, v4, v14
	v_add_f32_e32 v4, v4, v15
	global_store_dword v16, v4, s[0:1] offset:3072
	ds_read_b128 v[4:7], v16 offset:80
	s_waitcnt lgkmcnt(1)
	v_add_f32_e32 v0, 0, v0
	v_add_f32_e32 v0, v0, v1
	;; [unrolled: 1-line block ×4, first 2 shown]
	v_mov_b32_e32 v8, 0x1000
	global_store_dword v8, v0, s[0:1]
	s_waitcnt lgkmcnt(0)
	v_add_f32_e32 v0, 0, v4
	v_add_f32_e32 v4, v0, v5
	ds_read_b128 v[0:3], v16 offset:96
	v_add_f32_e32 v4, v4, v6
	v_add_f32_e32 v4, v4, v7
	global_store_dword v8, v4, s[0:1] offset:1024
	ds_read_b128 v[4:7], v16 offset:112
	s_waitcnt lgkmcnt(1)
	v_add_f32_e32 v0, 0, v0
	v_add_f32_e32 v0, v0, v1
	;; [unrolled: 1-line block ×4, first 2 shown]
	global_store_dword v8, v0, s[0:1] offset:2048
	s_waitcnt lgkmcnt(0)
	v_add_f32_e32 v0, 0, v4
	v_add_f32_e32 v4, v0, v5
	ds_read_b128 v[0:3], v16 offset:128
	v_add_f32_e32 v4, v4, v6
	v_add_f32_e32 v4, v4, v7
	global_store_dword v8, v4, s[0:1] offset:3072
	ds_read_b128 v[4:7], v16 offset:144
	s_waitcnt lgkmcnt(1)
	v_add_f32_e32 v0, 0, v0
	v_add_f32_e32 v0, v0, v1
	;; [unrolled: 1-line block ×4, first 2 shown]
	v_mov_b32_e32 v12, 0x2000
	global_store_dword v12, v0, s[0:1]
	ds_read_b128 v[0:3], v16 offset:160
	ds_read_b128 v[8:11], v16 offset:176
	s_waitcnt lgkmcnt(2)
	v_add_f32_e32 v4, 0, v4
	v_add_f32_e32 v4, v4, v5
	;; [unrolled: 1-line block ×3, first 2 shown]
	s_waitcnt lgkmcnt(1)
	v_add_f32_e32 v0, 0, v0
	v_add_f32_e32 v0, v0, v1
	;; [unrolled: 1-line block ×5, first 2 shown]
	global_store_dword v12, v0, s[0:1] offset:2048
	s_waitcnt lgkmcnt(0)
	v_add_f32_e32 v0, 0, v8
	global_store_dword v12, v4, s[0:1] offset:1024
	v_add_f32_e32 v4, v0, v9
	ds_read_b128 v[0:3], v16 offset:192
	v_add_f32_e32 v4, v4, v10
	v_add_f32_e32 v4, v4, v11
	global_store_dword v12, v4, s[0:1] offset:3072
	ds_read_b128 v[4:7], v16 offset:208
	s_waitcnt lgkmcnt(1)
	v_add_f32_e32 v0, 0, v0
	v_add_f32_e32 v0, v0, v1
	;; [unrolled: 1-line block ×4, first 2 shown]
	v_mov_b32_e32 v8, 0x3000
	global_store_dword v8, v0, s[0:1]
	s_waitcnt lgkmcnt(0)
	v_add_f32_e32 v0, 0, v4
	v_add_f32_e32 v4, v0, v5
	ds_read_b128 v[0:3], v16 offset:224
	v_add_f32_e32 v4, v4, v6
	v_add_f32_e32 v4, v4, v7
	global_store_dword v8, v4, s[0:1] offset:1024
	ds_read_b128 v[4:7], v16 offset:240
	s_waitcnt lgkmcnt(1)
	v_add_f32_e32 v0, 0, v0
	v_add_f32_e32 v0, v0, v1
	;; [unrolled: 1-line block ×4, first 2 shown]
	global_store_dword v8, v0, s[0:1] offset:2048
	s_waitcnt lgkmcnt(0)
	v_add_f32_e32 v0, 0, v4
	v_add_f32_e32 v4, v0, v5
	ds_read_b128 v[0:3], v16 offset:256
	v_add_f32_e32 v4, v4, v6
	v_add_f32_e32 v4, v4, v7
	global_store_dword v8, v4, s[0:1] offset:3072
	ds_read_b128 v[4:7], v16 offset:272
	s_waitcnt lgkmcnt(1)
	v_add_f32_e32 v0, 0, v0
	v_add_f32_e32 v0, v0, v1
	;; [unrolled: 1-line block ×4, first 2 shown]
	v_mov_b32_e32 v12, 0x4000
	global_store_dword v12, v0, s[0:1]
	ds_read_b128 v[0:3], v16 offset:288
	ds_read_b128 v[8:11], v16 offset:304
	s_waitcnt lgkmcnt(2)
	v_add_f32_e32 v4, 0, v4
	v_add_f32_e32 v4, v4, v5
	;; [unrolled: 1-line block ×3, first 2 shown]
	s_waitcnt lgkmcnt(1)
	v_add_f32_e32 v0, 0, v0
	v_add_f32_e32 v0, v0, v1
	;; [unrolled: 1-line block ×5, first 2 shown]
	global_store_dword v12, v0, s[0:1] offset:2048
	s_waitcnt lgkmcnt(0)
	v_add_f32_e32 v0, 0, v8
	global_store_dword v12, v4, s[0:1] offset:1024
	v_add_f32_e32 v4, v0, v9
	ds_read_b128 v[0:3], v16 offset:320
	v_add_f32_e32 v4, v4, v10
	v_add_f32_e32 v4, v4, v11
	global_store_dword v12, v4, s[0:1] offset:3072
	ds_read_b128 v[4:7], v16 offset:336
	s_waitcnt lgkmcnt(1)
	v_add_f32_e32 v0, 0, v0
	v_add_f32_e32 v0, v0, v1
	;; [unrolled: 1-line block ×4, first 2 shown]
	v_mov_b32_e32 v8, 0x5000
	global_store_dword v8, v0, s[0:1]
	s_waitcnt lgkmcnt(0)
	v_add_f32_e32 v0, 0, v4
	v_add_f32_e32 v4, v0, v5
	ds_read_b128 v[0:3], v16 offset:352
	v_add_f32_e32 v4, v4, v6
	v_add_f32_e32 v4, v4, v7
	global_store_dword v8, v4, s[0:1] offset:1024
	ds_read_b128 v[4:7], v16 offset:368
	s_waitcnt lgkmcnt(1)
	v_add_f32_e32 v0, 0, v0
	v_add_f32_e32 v0, v0, v1
	;; [unrolled: 1-line block ×4, first 2 shown]
	global_store_dword v8, v0, s[0:1] offset:2048
	s_waitcnt lgkmcnt(0)
	v_add_f32_e32 v0, 0, v4
	v_add_f32_e32 v4, v0, v5
	ds_read_b128 v[0:3], v16 offset:384
	v_add_f32_e32 v4, v4, v6
	v_add_f32_e32 v4, v4, v7
	global_store_dword v8, v4, s[0:1] offset:3072
	ds_read_b128 v[4:7], v16 offset:400
	s_waitcnt lgkmcnt(1)
	v_add_f32_e32 v0, 0, v0
	v_add_f32_e32 v0, v0, v1
	;; [unrolled: 1-line block ×4, first 2 shown]
	v_mov_b32_e32 v8, 0x6000
	global_store_dword v8, v0, s[0:1]
	s_waitcnt lgkmcnt(0)
	v_add_f32_e32 v0, 0, v4
	v_add_f32_e32 v4, v0, v5
	ds_read_b128 v[0:3], v16 offset:416
	v_add_f32_e32 v4, v4, v6
	v_add_f32_e32 v4, v4, v7
	global_store_dword v8, v4, s[0:1] offset:1024
	ds_read_b128 v[4:7], v16 offset:432
	s_waitcnt lgkmcnt(1)
	v_add_f32_e32 v0, 0, v0
	v_add_f32_e32 v0, v0, v1
	;; [unrolled: 1-line block ×4, first 2 shown]
	global_store_dword v8, v0, s[0:1] offset:2048
	s_waitcnt lgkmcnt(0)
	v_add_f32_e32 v0, 0, v4
	v_add_f32_e32 v0, v0, v5
	;; [unrolled: 1-line block ×4, first 2 shown]
	global_store_dword v8, v0, s[0:1] offset:3072
.LBB59_60:
	s_endpgm
	.section	.rodata,"a",@progbits
	.p2align	6, 0x0
	.amdhsa_kernel _Z23fp32_router_gemm_kernelI14__hip_bfloat16Li128ELi28ELi256ELi3072EEvPfPKT_PKf
		.amdhsa_group_segment_fixed_size 448
		.amdhsa_private_segment_fixed_size 0
		.amdhsa_kernarg_size 24
		.amdhsa_user_sgpr_count 6
		.amdhsa_user_sgpr_private_segment_buffer 1
		.amdhsa_user_sgpr_dispatch_ptr 0
		.amdhsa_user_sgpr_queue_ptr 0
		.amdhsa_user_sgpr_kernarg_segment_ptr 1
		.amdhsa_user_sgpr_dispatch_id 0
		.amdhsa_user_sgpr_flat_scratch_init 0
		.amdhsa_user_sgpr_kernarg_preload_length 0
		.amdhsa_user_sgpr_kernarg_preload_offset 0
		.amdhsa_user_sgpr_private_segment_size 0
		.amdhsa_uses_dynamic_stack 0
		.amdhsa_system_sgpr_private_segment_wavefront_offset 0
		.amdhsa_system_sgpr_workgroup_id_x 1
		.amdhsa_system_sgpr_workgroup_id_y 0
		.amdhsa_system_sgpr_workgroup_id_z 0
		.amdhsa_system_sgpr_workgroup_info 0
		.amdhsa_system_vgpr_workitem_id 0
		.amdhsa_next_free_vgpr 50
		.amdhsa_next_free_sgpr 37
		.amdhsa_accum_offset 52
		.amdhsa_reserve_vcc 1
		.amdhsa_reserve_flat_scratch 0
		.amdhsa_float_round_mode_32 0
		.amdhsa_float_round_mode_16_64 0
		.amdhsa_float_denorm_mode_32 3
		.amdhsa_float_denorm_mode_16_64 3
		.amdhsa_dx10_clamp 1
		.amdhsa_ieee_mode 1
		.amdhsa_fp16_overflow 0
		.amdhsa_tg_split 0
		.amdhsa_exception_fp_ieee_invalid_op 0
		.amdhsa_exception_fp_denorm_src 0
		.amdhsa_exception_fp_ieee_div_zero 0
		.amdhsa_exception_fp_ieee_overflow 0
		.amdhsa_exception_fp_ieee_underflow 0
		.amdhsa_exception_fp_ieee_inexact 0
		.amdhsa_exception_int_div_zero 0
	.end_amdhsa_kernel
	.section	.text._Z23fp32_router_gemm_kernelI14__hip_bfloat16Li128ELi28ELi256ELi3072EEvPfPKT_PKf,"axG",@progbits,_Z23fp32_router_gemm_kernelI14__hip_bfloat16Li128ELi28ELi256ELi3072EEvPfPKT_PKf,comdat
.Lfunc_end59:
	.size	_Z23fp32_router_gemm_kernelI14__hip_bfloat16Li128ELi28ELi256ELi3072EEvPfPKT_PKf, .Lfunc_end59-_Z23fp32_router_gemm_kernelI14__hip_bfloat16Li128ELi28ELi256ELi3072EEvPfPKT_PKf
                                        ; -- End function
	.section	.AMDGPU.csdata,"",@progbits
; Kernel info:
; codeLenInByte = 8160
; NumSgprs: 41
; NumVgprs: 50
; NumAgprs: 0
; TotalNumVgprs: 50
; ScratchSize: 0
; MemoryBound: 0
; FloatMode: 240
; IeeeMode: 1
; LDSByteSize: 448 bytes/workgroup (compile time only)
; SGPRBlocks: 5
; VGPRBlocks: 6
; NumSGPRsForWavesPerEU: 41
; NumVGPRsForWavesPerEU: 50
; AccumOffset: 52
; Occupancy: 8
; WaveLimiterHint : 1
; COMPUTE_PGM_RSRC2:SCRATCH_EN: 0
; COMPUTE_PGM_RSRC2:USER_SGPR: 6
; COMPUTE_PGM_RSRC2:TRAP_HANDLER: 0
; COMPUTE_PGM_RSRC2:TGID_X_EN: 1
; COMPUTE_PGM_RSRC2:TGID_Y_EN: 0
; COMPUTE_PGM_RSRC2:TGID_Z_EN: 0
; COMPUTE_PGM_RSRC2:TIDIG_COMP_CNT: 0
; COMPUTE_PGM_RSRC3_GFX90A:ACCUM_OFFSET: 12
; COMPUTE_PGM_RSRC3_GFX90A:TG_SPLIT: 0
	.section	.text._Z23fp32_router_gemm_kernelI14__hip_bfloat16Li128ELi29ELi256ELi3072EEvPfPKT_PKf,"axG",@progbits,_Z23fp32_router_gemm_kernelI14__hip_bfloat16Li128ELi29ELi256ELi3072EEvPfPKT_PKf,comdat
	.protected	_Z23fp32_router_gemm_kernelI14__hip_bfloat16Li128ELi29ELi256ELi3072EEvPfPKT_PKf ; -- Begin function _Z23fp32_router_gemm_kernelI14__hip_bfloat16Li128ELi29ELi256ELi3072EEvPfPKT_PKf
	.globl	_Z23fp32_router_gemm_kernelI14__hip_bfloat16Li128ELi29ELi256ELi3072EEvPfPKT_PKf
	.p2align	8
	.type	_Z23fp32_router_gemm_kernelI14__hip_bfloat16Li128ELi29ELi256ELi3072EEvPfPKT_PKf,@function
_Z23fp32_router_gemm_kernelI14__hip_bfloat16Li128ELi29ELi256ELi3072EEvPfPKT_PKf: ; @_Z23fp32_router_gemm_kernelI14__hip_bfloat16Li128ELi29ELi256ELi3072EEvPfPKT_PKf
; %bb.0:
	s_load_dwordx4 s[0:3], s[4:5], 0x0
	s_load_dwordx2 s[8:9], s[4:5], 0x10
	s_mul_i32 s4, s6, 0xc00
	s_ashr_i32 s5, s4, 31
	s_lshl_b64 s[4:5], s[4:5], 2
	v_lshlrev_b32_e32 v10, 3, v0
	s_waitcnt lgkmcnt(0)
	s_add_u32 s4, s8, s4
	v_or_b32_e32 v1, 0x400, v10
	v_or_b32_e32 v12, 0x800, v10
	s_addc_u32 s5, s9, s5
	s_mov_b64 s[8:9], 0
	v_mov_b32_e32 v39, 0
	v_mov_b32_e32 v40, s3
	s_movk_i32 s7, 0x1000
	s_movk_i32 s10, 0x3000
	;; [unrolled: 1-line block ×5, first 2 shown]
	s_mov_b32 s14, 0x9000
	s_mov_b32 s15, 0xa000
	;; [unrolled: 1-line block ×23, first 2 shown]
	v_mov_b32_e32 v41, 0
	v_mov_b32_e32 v38, 0
	;; [unrolled: 1-line block ×28, first 2 shown]
.LBB60_1:                               ; =>This Inner Loop Header: Depth=1
	s_cmp_eq_u32 s8, 1
	s_cselect_b64 vcc, -1, 0
	s_cmp_eq_u32 s8, 2
	v_cndmask_b32_e32 v2, v10, v1, vcc
	s_cselect_b64 vcc, -1, 0
	v_cndmask_b32_e32 v2, v2, v12, vcc
	v_lshlrev_b32_e32 v48, 2, v2
	v_lshlrev_b32_e32 v49, 1, v2
	global_load_dwordx4 v[2:5], v48, s[4:5] offset:16
	global_load_dwordx4 v[6:9], v48, s[4:5]
	global_load_dwordx4 v[44:47], v49, s[2:3]
	v_add_co_u32_e32 v42, vcc, s2, v49
	v_addc_co_u32_e32 v43, vcc, 0, v40, vcc
	s_add_u32 s8, s8, 1
	s_addc_u32 s9, s9, 0
	s_cmp_eq_u32 s8, 3
	s_waitcnt vmcnt(0)
	v_and_b32_e32 v49, 0xffff0000, v44
	v_lshlrev_b32_e32 v48, 16, v44
	v_pk_mul_f32 v[48:49], v[6:7], v[48:49]
	v_add_f32_e32 v39, v48, v39
	v_add_f32_e32 v39, v49, v39
	v_and_b32_e32 v49, 0xffff0000, v45
	v_lshlrev_b32_e32 v48, 16, v45
	v_pk_mul_f32 v[44:45], v[8:9], v[48:49]
	v_add_f32_e32 v39, v44, v39
	v_add_f32_e32 v39, v45, v39
	v_and_b32_e32 v45, 0xffff0000, v46
	v_lshlrev_b32_e32 v44, 16, v46
	v_pk_mul_f32 v[44:45], v[2:3], v[44:45]
	v_add_f32_e32 v39, v44, v39
	v_add_f32_e32 v39, v45, v39
	v_and_b32_e32 v45, 0xffff0000, v47
	v_lshlrev_b32_e32 v44, 16, v47
	v_pk_mul_f32 v[44:45], v[4:5], v[44:45]
	v_add_f32_e32 v39, v44, v39
	v_add_co_u32_e32 v44, vcc, s7, v42
	v_add_f32_e32 v39, v45, v39
	v_addc_co_u32_e32 v45, vcc, 0, v43, vcc
	global_load_dwordx4 v[44:47], v[44:45], off offset:2048
	s_waitcnt vmcnt(0)
	v_and_b32_e32 v49, 0xffff0000, v44
	v_lshlrev_b32_e32 v48, 16, v44
	v_pk_mul_f32 v[48:49], v[6:7], v[48:49]
	v_add_f32_e32 v41, v48, v41
	v_add_f32_e32 v41, v49, v41
	v_and_b32_e32 v49, 0xffff0000, v45
	v_lshlrev_b32_e32 v48, 16, v45
	v_pk_mul_f32 v[44:45], v[8:9], v[48:49]
	v_add_f32_e32 v41, v44, v41
	v_add_f32_e32 v41, v45, v41
	v_and_b32_e32 v45, 0xffff0000, v46
	v_lshlrev_b32_e32 v44, 16, v46
	v_pk_mul_f32 v[44:45], v[2:3], v[44:45]
	v_add_f32_e32 v41, v44, v41
	v_add_f32_e32 v41, v45, v41
	v_and_b32_e32 v45, 0xffff0000, v47
	v_lshlrev_b32_e32 v44, 16, v47
	v_pk_mul_f32 v[44:45], v[4:5], v[44:45]
	v_add_f32_e32 v41, v44, v41
	v_add_co_u32_e32 v44, vcc, s10, v42
	v_add_f32_e32 v41, v45, v41
	v_addc_co_u32_e32 v45, vcc, 0, v43, vcc
	global_load_dwordx4 v[44:47], v[44:45], off
	s_waitcnt vmcnt(0)
	v_and_b32_e32 v49, 0xffff0000, v44
	v_lshlrev_b32_e32 v48, 16, v44
	v_pk_mul_f32 v[48:49], v[6:7], v[48:49]
	v_add_f32_e32 v38, v48, v38
	v_add_f32_e32 v38, v49, v38
	v_and_b32_e32 v49, 0xffff0000, v45
	v_lshlrev_b32_e32 v48, 16, v45
	v_pk_mul_f32 v[44:45], v[8:9], v[48:49]
	v_add_f32_e32 v38, v44, v38
	v_add_f32_e32 v38, v45, v38
	v_and_b32_e32 v45, 0xffff0000, v46
	v_lshlrev_b32_e32 v44, 16, v46
	v_pk_mul_f32 v[44:45], v[2:3], v[44:45]
	v_add_f32_e32 v38, v44, v38
	v_add_f32_e32 v38, v45, v38
	v_and_b32_e32 v45, 0xffff0000, v47
	v_lshlrev_b32_e32 v44, 16, v47
	v_pk_mul_f32 v[44:45], v[4:5], v[44:45]
	v_add_f32_e32 v38, v44, v38
	v_add_co_u32_e32 v44, vcc, s11, v42
	v_add_f32_e32 v38, v45, v38
	v_addc_co_u32_e32 v45, vcc, 0, v43, vcc
	global_load_dwordx4 v[44:47], v[44:45], off offset:2048
	s_waitcnt vmcnt(0)
	v_and_b32_e32 v49, 0xffff0000, v44
	v_lshlrev_b32_e32 v48, 16, v44
	v_pk_mul_f32 v[48:49], v[6:7], v[48:49]
	v_add_f32_e32 v37, v48, v37
	v_add_f32_e32 v37, v49, v37
	v_and_b32_e32 v49, 0xffff0000, v45
	v_lshlrev_b32_e32 v48, 16, v45
	v_pk_mul_f32 v[44:45], v[8:9], v[48:49]
	v_add_f32_e32 v37, v44, v37
	v_add_f32_e32 v37, v45, v37
	v_and_b32_e32 v45, 0xffff0000, v46
	v_lshlrev_b32_e32 v44, 16, v46
	v_pk_mul_f32 v[44:45], v[2:3], v[44:45]
	v_add_f32_e32 v37, v44, v37
	v_add_f32_e32 v37, v45, v37
	v_and_b32_e32 v45, 0xffff0000, v47
	v_lshlrev_b32_e32 v44, 16, v47
	v_pk_mul_f32 v[44:45], v[4:5], v[44:45]
	v_add_f32_e32 v37, v44, v37
	v_add_co_u32_e32 v44, vcc, s12, v42
	v_add_f32_e32 v37, v45, v37
	v_addc_co_u32_e32 v45, vcc, 0, v43, vcc
	global_load_dwordx4 v[44:47], v[44:45], off
	;; [unrolled: 48-line block ×13, first 2 shown]
	s_waitcnt vmcnt(0)
	v_and_b32_e32 v49, 0xffff0000, v44
	v_lshlrev_b32_e32 v48, 16, v44
	v_pk_mul_f32 v[48:49], v[6:7], v[48:49]
	v_add_f32_e32 v13, v48, v13
	v_add_f32_e32 v13, v49, v13
	v_and_b32_e32 v49, 0xffff0000, v45
	v_lshlrev_b32_e32 v48, 16, v45
	v_pk_mul_f32 v[44:45], v[8:9], v[48:49]
	v_add_f32_e32 v13, v44, v13
	v_add_f32_e32 v13, v45, v13
	v_and_b32_e32 v45, 0xffff0000, v46
	v_lshlrev_b32_e32 v44, 16, v46
	v_pk_mul_f32 v[44:45], v[2:3], v[44:45]
	v_add_f32_e32 v13, v44, v13
	v_add_f32_e32 v13, v45, v13
	v_and_b32_e32 v45, 0xffff0000, v47
	v_lshlrev_b32_e32 v44, 16, v47
	v_pk_mul_f32 v[44:45], v[4:5], v[44:45]
	v_add_f32_e32 v13, v44, v13
	v_add_co_u32_e32 v44, vcc, s36, v42
	v_add_f32_e32 v13, v45, v13
	v_addc_co_u32_e32 v45, vcc, 0, v43, vcc
	global_load_dwordx4 v[44:47], v[44:45], off offset:2048
	v_add_co_u32_e32 v42, vcc, s37, v42
	v_addc_co_u32_e32 v43, vcc, 0, v43, vcc
	s_waitcnt vmcnt(0)
	v_and_b32_e32 v49, 0xffff0000, v44
	v_lshlrev_b32_e32 v48, 16, v44
	v_pk_mul_f32 v[48:49], v[6:7], v[48:49]
	v_add_f32_e32 v11, v48, v11
	v_add_f32_e32 v11, v49, v11
	v_and_b32_e32 v49, 0xffff0000, v45
	v_lshlrev_b32_e32 v48, 16, v45
	v_pk_mul_f32 v[44:45], v[8:9], v[48:49]
	v_add_f32_e32 v11, v44, v11
	v_add_f32_e32 v11, v45, v11
	v_and_b32_e32 v45, 0xffff0000, v46
	v_lshlrev_b32_e32 v44, 16, v46
	v_pk_mul_f32 v[44:45], v[2:3], v[44:45]
	v_add_f32_e32 v11, v44, v11
	v_add_f32_e32 v11, v45, v11
	v_and_b32_e32 v45, 0xffff0000, v47
	v_lshlrev_b32_e32 v44, 16, v47
	v_pk_mul_f32 v[44:45], v[4:5], v[44:45]
	v_add_f32_e32 v11, v44, v11
	v_add_f32_e32 v11, v45, v11
	global_load_dwordx4 v[42:45], v[42:43], off
	s_waitcnt vmcnt(0)
	v_and_b32_e32 v47, 0xffff0000, v42
	v_lshlrev_b32_e32 v46, 16, v42
	v_pk_mul_f32 v[6:7], v[6:7], v[46:47]
	v_add_f32_e32 v6, v6, v26
	v_add_f32_e32 v26, v7, v6
	v_and_b32_e32 v7, 0xffff0000, v43
	v_lshlrev_b32_e32 v6, 16, v43
	v_pk_mul_f32 v[6:7], v[8:9], v[6:7]
	v_add_f32_e32 v6, v6, v26
	v_add_f32_e32 v8, v7, v6
	;; [unrolled: 5-line block ×4, first 2 shown]
	s_cbranch_scc0 .LBB60_1
; %bb.2:
	v_mbcnt_lo_u32_b32 v1, -1, 0
	v_mbcnt_hi_u32_b32 v5, -1, v1
	v_and_b32_e32 v2, 64, v5
	v_xor_b32_e32 v1, 16, v5
	v_add_u32_e32 v6, 64, v2
	v_cmp_lt_i32_e32 vcc, v1, v6
	v_cndmask_b32_e32 v1, v5, v1, vcc
	v_lshlrev_b32_e32 v1, 2, v1
	ds_bpermute_b32 v3, v1, v39
	v_xor_b32_e32 v2, 8, v5
	v_cmp_lt_i32_e32 vcc, v2, v6
	v_cndmask_b32_e32 v2, v5, v2, vcc
	v_lshlrev_b32_e32 v2, 2, v2
	s_waitcnt lgkmcnt(0)
	v_add_f32_e32 v4, v39, v3
	ds_bpermute_b32 v7, v2, v4
	v_xor_b32_e32 v3, 4, v5
	v_cmp_lt_i32_e32 vcc, v3, v6
	v_cndmask_b32_e32 v3, v5, v3, vcc
	v_lshlrev_b32_e32 v3, 2, v3
	s_waitcnt lgkmcnt(0)
	v_add_f32_e32 v7, v4, v7
	;; [unrolled: 7-line block ×4, first 2 shown]
	ds_bpermute_b32 v8, v6, v7
	v_lshrrev_b32_e32 v5, 5, v0
	v_and_b32_e32 v9, 31, v0
	v_cmp_eq_u32_e32 vcc, 0, v9
	v_lshlrev_b32_e32 v5, 2, v5
	s_and_saveexec_b64 s[2:3], vcc
	s_cbranch_execz .LBB60_4
; %bb.3:
	s_waitcnt lgkmcnt(0)
	v_add_f32_e32 v7, v7, v8
	ds_write_b32 v5, v7
.LBB60_4:
	s_or_b64 exec, exec, s[2:3]
	ds_bpermute_b32 v7, v1, v41
	s_waitcnt lgkmcnt(0)
	v_add_f32_e32 v7, v41, v7
	ds_bpermute_b32 v8, v2, v7
	s_waitcnt lgkmcnt(0)
	v_add_f32_e32 v7, v7, v8
	ds_bpermute_b32 v8, v3, v7
	s_waitcnt lgkmcnt(0)
	v_add_f32_e32 v7, v7, v8
	ds_bpermute_b32 v8, v4, v7
	s_waitcnt lgkmcnt(0)
	v_add_f32_e32 v7, v7, v8
	ds_bpermute_b32 v8, v6, v7
	s_and_saveexec_b64 s[2:3], vcc
	s_cbranch_execz .LBB60_6
; %bb.5:
	s_waitcnt lgkmcnt(0)
	v_add_f32_e32 v7, v7, v8
	ds_write_b32 v5, v7 offset:16
.LBB60_6:
	s_or_b64 exec, exec, s[2:3]
	ds_bpermute_b32 v7, v1, v38
	s_waitcnt lgkmcnt(0)
	v_add_f32_e32 v7, v38, v7
	ds_bpermute_b32 v8, v2, v7
	s_waitcnt lgkmcnt(0)
	v_add_f32_e32 v7, v7, v8
	ds_bpermute_b32 v8, v3, v7
	s_waitcnt lgkmcnt(0)
	v_add_f32_e32 v7, v7, v8
	ds_bpermute_b32 v8, v4, v7
	s_waitcnt lgkmcnt(0)
	v_add_f32_e32 v7, v7, v8
	ds_bpermute_b32 v8, v6, v7
	s_and_saveexec_b64 s[2:3], vcc
	s_cbranch_execz .LBB60_8
; %bb.7:
	s_waitcnt lgkmcnt(0)
	v_add_f32_e32 v7, v7, v8
	ds_write_b32 v5, v7 offset:32
.LBB60_8:
	;; [unrolled: 21-line block ×28, first 2 shown]
	s_or_b64 exec, exec, s[2:3]
	v_cmp_eq_u32_e32 vcc, 0, v0
	s_waitcnt lgkmcnt(0)
	s_barrier
	s_and_saveexec_b64 s[2:3], vcc
	s_cbranch_execz .LBB60_62
; %bb.61:
	v_mov_b32_e32 v16, 0
	ds_read_b128 v[0:3], v16
	s_ashr_i32 s7, s6, 31
	ds_read_b128 v[4:7], v16 offset:16
	ds_read_b128 v[8:11], v16 offset:32
	;; [unrolled: 1-line block ×3, first 2 shown]
	s_lshl_b64 s[2:3], s[6:7], 2
	s_add_u32 s0, s0, s2
	s_waitcnt lgkmcnt(3)
	v_add_f32_e32 v0, 0, v0
	v_add_f32_e32 v0, v0, v1
	;; [unrolled: 1-line block ×4, first 2 shown]
	s_addc_u32 s1, s1, s3
	global_store_dword v16, v0, s[0:1]
	s_waitcnt lgkmcnt(2)
	v_add_f32_e32 v0, 0, v4
	v_add_f32_e32 v0, v0, v5
	v_add_f32_e32 v0, v0, v6
	v_add_f32_e32 v0, v0, v7
	global_store_dword v16, v0, s[0:1] offset:1024
	s_waitcnt lgkmcnt(1)
	v_add_f32_e32 v0, 0, v8
	v_add_f32_e32 v0, v0, v9
	v_add_f32_e32 v0, v0, v10
	v_add_f32_e32 v0, v0, v11
	global_store_dword v16, v0, s[0:1] offset:2048
	s_waitcnt lgkmcnt(0)
	v_add_f32_e32 v0, 0, v12
	v_add_f32_e32 v4, v0, v13
	ds_read_b128 v[0:3], v16 offset:64
	v_add_f32_e32 v4, v4, v14
	v_add_f32_e32 v4, v4, v15
	global_store_dword v16, v4, s[0:1] offset:3072
	ds_read_b128 v[4:7], v16 offset:80
	s_waitcnt lgkmcnt(1)
	v_add_f32_e32 v0, 0, v0
	v_add_f32_e32 v0, v0, v1
	;; [unrolled: 1-line block ×4, first 2 shown]
	v_mov_b32_e32 v8, 0x1000
	global_store_dword v8, v0, s[0:1]
	s_waitcnt lgkmcnt(0)
	v_add_f32_e32 v0, 0, v4
	v_add_f32_e32 v4, v0, v5
	ds_read_b128 v[0:3], v16 offset:96
	v_add_f32_e32 v4, v4, v6
	v_add_f32_e32 v4, v4, v7
	global_store_dword v8, v4, s[0:1] offset:1024
	ds_read_b128 v[4:7], v16 offset:112
	s_waitcnt lgkmcnt(1)
	v_add_f32_e32 v0, 0, v0
	v_add_f32_e32 v0, v0, v1
	;; [unrolled: 1-line block ×4, first 2 shown]
	global_store_dword v8, v0, s[0:1] offset:2048
	s_waitcnt lgkmcnt(0)
	v_add_f32_e32 v0, 0, v4
	v_add_f32_e32 v4, v0, v5
	ds_read_b128 v[0:3], v16 offset:128
	v_add_f32_e32 v4, v4, v6
	v_add_f32_e32 v4, v4, v7
	global_store_dword v8, v4, s[0:1] offset:3072
	ds_read_b128 v[4:7], v16 offset:144
	s_waitcnt lgkmcnt(1)
	v_add_f32_e32 v0, 0, v0
	v_add_f32_e32 v0, v0, v1
	;; [unrolled: 1-line block ×4, first 2 shown]
	v_mov_b32_e32 v12, 0x2000
	global_store_dword v12, v0, s[0:1]
	ds_read_b128 v[0:3], v16 offset:160
	ds_read_b128 v[8:11], v16 offset:176
	s_waitcnt lgkmcnt(2)
	v_add_f32_e32 v4, 0, v4
	v_add_f32_e32 v4, v4, v5
	;; [unrolled: 1-line block ×3, first 2 shown]
	s_waitcnt lgkmcnt(1)
	v_add_f32_e32 v0, 0, v0
	v_add_f32_e32 v0, v0, v1
	;; [unrolled: 1-line block ×5, first 2 shown]
	global_store_dword v12, v0, s[0:1] offset:2048
	s_waitcnt lgkmcnt(0)
	v_add_f32_e32 v0, 0, v8
	global_store_dword v12, v4, s[0:1] offset:1024
	v_add_f32_e32 v4, v0, v9
	ds_read_b128 v[0:3], v16 offset:192
	v_add_f32_e32 v4, v4, v10
	v_add_f32_e32 v4, v4, v11
	global_store_dword v12, v4, s[0:1] offset:3072
	ds_read_b128 v[4:7], v16 offset:208
	s_waitcnt lgkmcnt(1)
	v_add_f32_e32 v0, 0, v0
	v_add_f32_e32 v0, v0, v1
	;; [unrolled: 1-line block ×4, first 2 shown]
	v_mov_b32_e32 v8, 0x3000
	global_store_dword v8, v0, s[0:1]
	s_waitcnt lgkmcnt(0)
	v_add_f32_e32 v0, 0, v4
	v_add_f32_e32 v4, v0, v5
	ds_read_b128 v[0:3], v16 offset:224
	v_add_f32_e32 v4, v4, v6
	v_add_f32_e32 v4, v4, v7
	global_store_dword v8, v4, s[0:1] offset:1024
	ds_read_b128 v[4:7], v16 offset:240
	s_waitcnt lgkmcnt(1)
	v_add_f32_e32 v0, 0, v0
	v_add_f32_e32 v0, v0, v1
	;; [unrolled: 1-line block ×4, first 2 shown]
	global_store_dword v8, v0, s[0:1] offset:2048
	s_waitcnt lgkmcnt(0)
	v_add_f32_e32 v0, 0, v4
	v_add_f32_e32 v4, v0, v5
	ds_read_b128 v[0:3], v16 offset:256
	v_add_f32_e32 v4, v4, v6
	v_add_f32_e32 v4, v4, v7
	global_store_dword v8, v4, s[0:1] offset:3072
	ds_read_b128 v[4:7], v16 offset:272
	s_waitcnt lgkmcnt(1)
	v_add_f32_e32 v0, 0, v0
	v_add_f32_e32 v0, v0, v1
	;; [unrolled: 1-line block ×4, first 2 shown]
	v_mov_b32_e32 v12, 0x4000
	global_store_dword v12, v0, s[0:1]
	ds_read_b128 v[0:3], v16 offset:288
	ds_read_b128 v[8:11], v16 offset:304
	s_waitcnt lgkmcnt(2)
	v_add_f32_e32 v4, 0, v4
	v_add_f32_e32 v4, v4, v5
	;; [unrolled: 1-line block ×3, first 2 shown]
	s_waitcnt lgkmcnt(1)
	v_add_f32_e32 v0, 0, v0
	v_add_f32_e32 v0, v0, v1
	v_add_f32_e32 v0, v0, v2
	v_add_f32_e32 v0, v0, v3
	v_add_f32_e32 v4, v4, v7
	global_store_dword v12, v0, s[0:1] offset:2048
	s_waitcnt lgkmcnt(0)
	v_add_f32_e32 v0, 0, v8
	global_store_dword v12, v4, s[0:1] offset:1024
	v_add_f32_e32 v4, v0, v9
	ds_read_b128 v[0:3], v16 offset:320
	v_add_f32_e32 v4, v4, v10
	v_add_f32_e32 v4, v4, v11
	global_store_dword v12, v4, s[0:1] offset:3072
	ds_read_b128 v[4:7], v16 offset:336
	s_waitcnt lgkmcnt(1)
	v_add_f32_e32 v0, 0, v0
	v_add_f32_e32 v0, v0, v1
	;; [unrolled: 1-line block ×4, first 2 shown]
	v_mov_b32_e32 v8, 0x5000
	global_store_dword v8, v0, s[0:1]
	s_waitcnt lgkmcnt(0)
	v_add_f32_e32 v0, 0, v4
	v_add_f32_e32 v4, v0, v5
	ds_read_b128 v[0:3], v16 offset:352
	v_add_f32_e32 v4, v4, v6
	v_add_f32_e32 v4, v4, v7
	global_store_dword v8, v4, s[0:1] offset:1024
	ds_read_b128 v[4:7], v16 offset:368
	s_waitcnt lgkmcnt(1)
	v_add_f32_e32 v0, 0, v0
	v_add_f32_e32 v0, v0, v1
	;; [unrolled: 1-line block ×4, first 2 shown]
	global_store_dword v8, v0, s[0:1] offset:2048
	s_waitcnt lgkmcnt(0)
	v_add_f32_e32 v0, 0, v4
	v_add_f32_e32 v4, v0, v5
	ds_read_b128 v[0:3], v16 offset:384
	v_add_f32_e32 v4, v4, v6
	v_add_f32_e32 v4, v4, v7
	global_store_dword v8, v4, s[0:1] offset:3072
	ds_read_b128 v[4:7], v16 offset:400
	s_waitcnt lgkmcnt(1)
	v_add_f32_e32 v0, 0, v0
	v_add_f32_e32 v0, v0, v1
	;; [unrolled: 1-line block ×4, first 2 shown]
	v_mov_b32_e32 v12, 0x6000
	global_store_dword v12, v0, s[0:1]
	s_waitcnt lgkmcnt(0)
	v_add_f32_e32 v0, 0, v4
	v_add_f32_e32 v0, v0, v5
	;; [unrolled: 1-line block ×3, first 2 shown]
	ds_read_b128 v[0:3], v16 offset:416
	v_add_f32_e32 v4, v4, v7
	global_store_dword v12, v4, s[0:1] offset:1024
	ds_read_b128 v[4:7], v16 offset:432
	ds_read_b128 v[8:11], v16 offset:448
	s_waitcnt lgkmcnt(2)
	v_add_f32_e32 v0, 0, v0
	v_add_f32_e32 v0, v0, v1
	;; [unrolled: 1-line block ×4, first 2 shown]
	global_store_dword v12, v0, s[0:1] offset:2048
	s_waitcnt lgkmcnt(1)
	v_add_f32_e32 v0, 0, v4
	v_add_f32_e32 v0, v0, v5
	;; [unrolled: 1-line block ×4, first 2 shown]
	global_store_dword v12, v0, s[0:1] offset:3072
	s_waitcnt lgkmcnt(0)
	v_add_f32_e32 v0, 0, v8
	v_add_f32_e32 v0, v0, v9
	;; [unrolled: 1-line block ×4, first 2 shown]
	v_mov_b32_e32 v1, 0x7000
	global_store_dword v1, v0, s[0:1]
.LBB60_62:
	s_endpgm
	.section	.rodata,"a",@progbits
	.p2align	6, 0x0
	.amdhsa_kernel _Z23fp32_router_gemm_kernelI14__hip_bfloat16Li128ELi29ELi256ELi3072EEvPfPKT_PKf
		.amdhsa_group_segment_fixed_size 464
		.amdhsa_private_segment_fixed_size 0
		.amdhsa_kernarg_size 24
		.amdhsa_user_sgpr_count 6
		.amdhsa_user_sgpr_private_segment_buffer 1
		.amdhsa_user_sgpr_dispatch_ptr 0
		.amdhsa_user_sgpr_queue_ptr 0
		.amdhsa_user_sgpr_kernarg_segment_ptr 1
		.amdhsa_user_sgpr_dispatch_id 0
		.amdhsa_user_sgpr_flat_scratch_init 0
		.amdhsa_user_sgpr_kernarg_preload_length 0
		.amdhsa_user_sgpr_kernarg_preload_offset 0
		.amdhsa_user_sgpr_private_segment_size 0
		.amdhsa_uses_dynamic_stack 0
		.amdhsa_system_sgpr_private_segment_wavefront_offset 0
		.amdhsa_system_sgpr_workgroup_id_x 1
		.amdhsa_system_sgpr_workgroup_id_y 0
		.amdhsa_system_sgpr_workgroup_id_z 0
		.amdhsa_system_sgpr_workgroup_info 0
		.amdhsa_system_vgpr_workitem_id 0
		.amdhsa_next_free_vgpr 50
		.amdhsa_next_free_sgpr 38
		.amdhsa_accum_offset 52
		.amdhsa_reserve_vcc 1
		.amdhsa_reserve_flat_scratch 0
		.amdhsa_float_round_mode_32 0
		.amdhsa_float_round_mode_16_64 0
		.amdhsa_float_denorm_mode_32 3
		.amdhsa_float_denorm_mode_16_64 3
		.amdhsa_dx10_clamp 1
		.amdhsa_ieee_mode 1
		.amdhsa_fp16_overflow 0
		.amdhsa_tg_split 0
		.amdhsa_exception_fp_ieee_invalid_op 0
		.amdhsa_exception_fp_denorm_src 0
		.amdhsa_exception_fp_ieee_div_zero 0
		.amdhsa_exception_fp_ieee_overflow 0
		.amdhsa_exception_fp_ieee_underflow 0
		.amdhsa_exception_fp_ieee_inexact 0
		.amdhsa_exception_int_div_zero 0
	.end_amdhsa_kernel
	.section	.text._Z23fp32_router_gemm_kernelI14__hip_bfloat16Li128ELi29ELi256ELi3072EEvPfPKT_PKf,"axG",@progbits,_Z23fp32_router_gemm_kernelI14__hip_bfloat16Li128ELi29ELi256ELi3072EEvPfPKT_PKf,comdat
.Lfunc_end60:
	.size	_Z23fp32_router_gemm_kernelI14__hip_bfloat16Li128ELi29ELi256ELi3072EEvPfPKT_PKf, .Lfunc_end60-_Z23fp32_router_gemm_kernelI14__hip_bfloat16Li128ELi29ELi256ELi3072EEvPfPKT_PKf
                                        ; -- End function
	.section	.AMDGPU.csdata,"",@progbits
; Kernel info:
; codeLenInByte = 8448
; NumSgprs: 42
; NumVgprs: 50
; NumAgprs: 0
; TotalNumVgprs: 50
; ScratchSize: 0
; MemoryBound: 0
; FloatMode: 240
; IeeeMode: 1
; LDSByteSize: 464 bytes/workgroup (compile time only)
; SGPRBlocks: 5
; VGPRBlocks: 6
; NumSGPRsForWavesPerEU: 42
; NumVGPRsForWavesPerEU: 50
; AccumOffset: 52
; Occupancy: 8
; WaveLimiterHint : 1
; COMPUTE_PGM_RSRC2:SCRATCH_EN: 0
; COMPUTE_PGM_RSRC2:USER_SGPR: 6
; COMPUTE_PGM_RSRC2:TRAP_HANDLER: 0
; COMPUTE_PGM_RSRC2:TGID_X_EN: 1
; COMPUTE_PGM_RSRC2:TGID_Y_EN: 0
; COMPUTE_PGM_RSRC2:TGID_Z_EN: 0
; COMPUTE_PGM_RSRC2:TIDIG_COMP_CNT: 0
; COMPUTE_PGM_RSRC3_GFX90A:ACCUM_OFFSET: 12
; COMPUTE_PGM_RSRC3_GFX90A:TG_SPLIT: 0
	.section	.text._Z23fp32_router_gemm_kernelI14__hip_bfloat16Li128ELi30ELi256ELi3072EEvPfPKT_PKf,"axG",@progbits,_Z23fp32_router_gemm_kernelI14__hip_bfloat16Li128ELi30ELi256ELi3072EEvPfPKT_PKf,comdat
	.protected	_Z23fp32_router_gemm_kernelI14__hip_bfloat16Li128ELi30ELi256ELi3072EEvPfPKT_PKf ; -- Begin function _Z23fp32_router_gemm_kernelI14__hip_bfloat16Li128ELi30ELi256ELi3072EEvPfPKT_PKf
	.globl	_Z23fp32_router_gemm_kernelI14__hip_bfloat16Li128ELi30ELi256ELi3072EEvPfPKT_PKf
	.p2align	8
	.type	_Z23fp32_router_gemm_kernelI14__hip_bfloat16Li128ELi30ELi256ELi3072EEvPfPKT_PKf,@function
_Z23fp32_router_gemm_kernelI14__hip_bfloat16Li128ELi30ELi256ELi3072EEvPfPKT_PKf: ; @_Z23fp32_router_gemm_kernelI14__hip_bfloat16Li128ELi30ELi256ELi3072EEvPfPKT_PKf
; %bb.0:
	s_load_dwordx4 s[0:3], s[4:5], 0x0
	s_load_dwordx2 s[8:9], s[4:5], 0x10
	s_mul_i32 s4, s6, 0xc00
	s_ashr_i32 s5, s4, 31
	s_lshl_b64 s[4:5], s[4:5], 2
	v_lshlrev_b32_e32 v10, 3, v0
	s_waitcnt lgkmcnt(0)
	s_add_u32 s4, s8, s4
	v_or_b32_e32 v1, 0x400, v10
	v_or_b32_e32 v12, 0x800, v10
	s_addc_u32 s5, s9, s5
	s_mov_b64 s[8:9], 0
	v_mov_b32_e32 v40, 0
	v_mov_b32_e32 v41, s3
	s_movk_i32 s7, 0x1000
	s_movk_i32 s10, 0x3000
	;; [unrolled: 1-line block ×5, first 2 shown]
	s_mov_b32 s14, 0x9000
	s_mov_b32 s15, 0xa000
	;; [unrolled: 1-line block ×24, first 2 shown]
	v_mov_b32_e32 v42, 0
	v_mov_b32_e32 v39, 0
	;; [unrolled: 1-line block ×29, first 2 shown]
.LBB61_1:                               ; =>This Inner Loop Header: Depth=1
	s_cmp_eq_u32 s8, 1
	s_cselect_b64 vcc, -1, 0
	s_cmp_eq_u32 s8, 2
	v_cndmask_b32_e32 v2, v10, v1, vcc
	s_cselect_b64 vcc, -1, 0
	v_cndmask_b32_e32 v2, v2, v12, vcc
	v_lshlrev_b32_e32 v45, 2, v2
	v_lshlrev_b32_e32 v50, 1, v2
	global_load_dwordx4 v[2:5], v45, s[4:5] offset:16
	global_load_dwordx4 v[6:9], v45, s[4:5]
	global_load_dwordx4 v[46:49], v50, s[2:3]
	v_add_co_u32_e32 v43, vcc, s2, v50
	v_addc_co_u32_e32 v44, vcc, 0, v41, vcc
	s_add_u32 s8, s8, 1
	s_addc_u32 s9, s9, 0
	s_cmp_eq_u32 s8, 3
	s_waitcnt vmcnt(0)
	v_and_b32_e32 v51, 0xffff0000, v46
	v_lshlrev_b32_e32 v50, 16, v46
	v_pk_mul_f32 v[50:51], v[6:7], v[50:51]
	v_add_f32_e32 v40, v50, v40
	v_add_f32_e32 v40, v51, v40
	v_and_b32_e32 v51, 0xffff0000, v47
	v_lshlrev_b32_e32 v50, 16, v47
	v_pk_mul_f32 v[46:47], v[8:9], v[50:51]
	v_add_f32_e32 v40, v46, v40
	v_add_f32_e32 v40, v47, v40
	v_and_b32_e32 v47, 0xffff0000, v48
	v_lshlrev_b32_e32 v46, 16, v48
	v_pk_mul_f32 v[46:47], v[2:3], v[46:47]
	v_add_f32_e32 v40, v46, v40
	v_add_f32_e32 v40, v47, v40
	v_and_b32_e32 v47, 0xffff0000, v49
	v_lshlrev_b32_e32 v46, 16, v49
	v_pk_mul_f32 v[46:47], v[4:5], v[46:47]
	v_add_f32_e32 v40, v46, v40
	v_add_co_u32_e32 v46, vcc, s7, v43
	v_add_f32_e32 v40, v47, v40
	v_addc_co_u32_e32 v47, vcc, 0, v44, vcc
	global_load_dwordx4 v[46:49], v[46:47], off offset:2048
	s_waitcnt vmcnt(0)
	v_and_b32_e32 v51, 0xffff0000, v46
	v_lshlrev_b32_e32 v50, 16, v46
	v_pk_mul_f32 v[50:51], v[6:7], v[50:51]
	v_add_f32_e32 v42, v50, v42
	v_add_f32_e32 v42, v51, v42
	v_and_b32_e32 v51, 0xffff0000, v47
	v_lshlrev_b32_e32 v50, 16, v47
	v_pk_mul_f32 v[46:47], v[8:9], v[50:51]
	v_add_f32_e32 v42, v46, v42
	v_add_f32_e32 v42, v47, v42
	v_and_b32_e32 v47, 0xffff0000, v48
	v_lshlrev_b32_e32 v46, 16, v48
	v_pk_mul_f32 v[46:47], v[2:3], v[46:47]
	v_add_f32_e32 v42, v46, v42
	v_add_f32_e32 v42, v47, v42
	v_and_b32_e32 v47, 0xffff0000, v49
	v_lshlrev_b32_e32 v46, 16, v49
	v_pk_mul_f32 v[46:47], v[4:5], v[46:47]
	v_add_f32_e32 v42, v46, v42
	v_add_co_u32_e32 v46, vcc, s10, v43
	v_add_f32_e32 v42, v47, v42
	v_addc_co_u32_e32 v47, vcc, 0, v44, vcc
	global_load_dwordx4 v[46:49], v[46:47], off
	s_waitcnt vmcnt(0)
	v_and_b32_e32 v51, 0xffff0000, v46
	v_lshlrev_b32_e32 v50, 16, v46
	v_pk_mul_f32 v[50:51], v[6:7], v[50:51]
	v_add_f32_e32 v39, v50, v39
	v_add_f32_e32 v39, v51, v39
	v_and_b32_e32 v51, 0xffff0000, v47
	v_lshlrev_b32_e32 v50, 16, v47
	v_pk_mul_f32 v[46:47], v[8:9], v[50:51]
	v_add_f32_e32 v39, v46, v39
	v_add_f32_e32 v39, v47, v39
	v_and_b32_e32 v47, 0xffff0000, v48
	v_lshlrev_b32_e32 v46, 16, v48
	v_pk_mul_f32 v[46:47], v[2:3], v[46:47]
	v_add_f32_e32 v39, v46, v39
	v_add_f32_e32 v39, v47, v39
	v_and_b32_e32 v47, 0xffff0000, v49
	v_lshlrev_b32_e32 v46, 16, v49
	v_pk_mul_f32 v[46:47], v[4:5], v[46:47]
	v_add_f32_e32 v39, v46, v39
	v_add_co_u32_e32 v46, vcc, s11, v43
	v_add_f32_e32 v39, v47, v39
	v_addc_co_u32_e32 v47, vcc, 0, v44, vcc
	global_load_dwordx4 v[46:49], v[46:47], off offset:2048
	s_waitcnt vmcnt(0)
	v_and_b32_e32 v51, 0xffff0000, v46
	v_lshlrev_b32_e32 v50, 16, v46
	v_pk_mul_f32 v[50:51], v[6:7], v[50:51]
	v_add_f32_e32 v38, v50, v38
	v_add_f32_e32 v38, v51, v38
	v_and_b32_e32 v51, 0xffff0000, v47
	v_lshlrev_b32_e32 v50, 16, v47
	v_pk_mul_f32 v[46:47], v[8:9], v[50:51]
	v_add_f32_e32 v38, v46, v38
	v_add_f32_e32 v38, v47, v38
	v_and_b32_e32 v47, 0xffff0000, v48
	v_lshlrev_b32_e32 v46, 16, v48
	v_pk_mul_f32 v[46:47], v[2:3], v[46:47]
	v_add_f32_e32 v38, v46, v38
	v_add_f32_e32 v38, v47, v38
	v_and_b32_e32 v47, 0xffff0000, v49
	v_lshlrev_b32_e32 v46, 16, v49
	v_pk_mul_f32 v[46:47], v[4:5], v[46:47]
	v_add_f32_e32 v38, v46, v38
	v_add_co_u32_e32 v46, vcc, s12, v43
	v_add_f32_e32 v38, v47, v38
	v_addc_co_u32_e32 v47, vcc, 0, v44, vcc
	global_load_dwordx4 v[46:49], v[46:47], off
	s_waitcnt vmcnt(0)
	v_and_b32_e32 v51, 0xffff0000, v46
	v_lshlrev_b32_e32 v50, 16, v46
	v_pk_mul_f32 v[50:51], v[6:7], v[50:51]
	v_add_f32_e32 v37, v50, v37
	v_add_f32_e32 v37, v51, v37
	v_and_b32_e32 v51, 0xffff0000, v47
	v_lshlrev_b32_e32 v50, 16, v47
	v_pk_mul_f32 v[46:47], v[8:9], v[50:51]
	v_add_f32_e32 v37, v46, v37
	v_add_f32_e32 v37, v47, v37
	v_and_b32_e32 v47, 0xffff0000, v48
	v_lshlrev_b32_e32 v46, 16, v48
	v_pk_mul_f32 v[46:47], v[2:3], v[46:47]
	v_add_f32_e32 v37, v46, v37
	v_add_f32_e32 v37, v47, v37
	v_and_b32_e32 v47, 0xffff0000, v49
	v_lshlrev_b32_e32 v46, 16, v49
	v_pk_mul_f32 v[46:47], v[4:5], v[46:47]
	v_add_f32_e32 v37, v46, v37
	v_add_co_u32_e32 v46, vcc, s13, v43
	v_add_f32_e32 v37, v47, v37
	v_addc_co_u32_e32 v47, vcc, 0, v44, vcc
	global_load_dwordx4 v[46:49], v[46:47], off offset:2048
	s_waitcnt vmcnt(0)
	v_and_b32_e32 v51, 0xffff0000, v46
	v_lshlrev_b32_e32 v50, 16, v46
	v_pk_mul_f32 v[50:51], v[6:7], v[50:51]
	v_add_f32_e32 v36, v50, v36
	v_add_f32_e32 v36, v51, v36
	v_and_b32_e32 v51, 0xffff0000, v47
	v_lshlrev_b32_e32 v50, 16, v47
	v_pk_mul_f32 v[46:47], v[8:9], v[50:51]
	v_add_f32_e32 v36, v46, v36
	v_add_f32_e32 v36, v47, v36
	v_and_b32_e32 v47, 0xffff0000, v48
	v_lshlrev_b32_e32 v46, 16, v48
	v_pk_mul_f32 v[46:47], v[2:3], v[46:47]
	v_add_f32_e32 v36, v46, v36
	v_add_f32_e32 v36, v47, v36
	v_and_b32_e32 v47, 0xffff0000, v49
	v_lshlrev_b32_e32 v46, 16, v49
	v_pk_mul_f32 v[46:47], v[4:5], v[46:47]
	v_add_f32_e32 v36, v46, v36
	v_add_co_u32_e32 v46, vcc, s14, v43
	v_add_f32_e32 v36, v47, v36
	v_addc_co_u32_e32 v47, vcc, 0, v44, vcc
	global_load_dwordx4 v[46:49], v[46:47], off
	s_waitcnt vmcnt(0)
	v_and_b32_e32 v51, 0xffff0000, v46
	v_lshlrev_b32_e32 v50, 16, v46
	v_pk_mul_f32 v[50:51], v[6:7], v[50:51]
	v_add_f32_e32 v35, v50, v35
	v_add_f32_e32 v35, v51, v35
	v_and_b32_e32 v51, 0xffff0000, v47
	v_lshlrev_b32_e32 v50, 16, v47
	v_pk_mul_f32 v[46:47], v[8:9], v[50:51]
	v_add_f32_e32 v35, v46, v35
	v_add_f32_e32 v35, v47, v35
	v_and_b32_e32 v47, 0xffff0000, v48
	v_lshlrev_b32_e32 v46, 16, v48
	v_pk_mul_f32 v[46:47], v[2:3], v[46:47]
	v_add_f32_e32 v35, v46, v35
	v_add_f32_e32 v35, v47, v35
	v_and_b32_e32 v47, 0xffff0000, v49
	v_lshlrev_b32_e32 v46, 16, v49
	v_pk_mul_f32 v[46:47], v[4:5], v[46:47]
	v_add_f32_e32 v35, v46, v35
	v_add_co_u32_e32 v46, vcc, s15, v43
	v_add_f32_e32 v35, v47, v35
	v_addc_co_u32_e32 v47, vcc, 0, v44, vcc
	global_load_dwordx4 v[46:49], v[46:47], off offset:2048
	s_waitcnt vmcnt(0)
	v_and_b32_e32 v51, 0xffff0000, v46
	v_lshlrev_b32_e32 v50, 16, v46
	v_pk_mul_f32 v[50:51], v[6:7], v[50:51]
	v_add_f32_e32 v34, v50, v34
	v_add_f32_e32 v34, v51, v34
	v_and_b32_e32 v51, 0xffff0000, v47
	v_lshlrev_b32_e32 v50, 16, v47
	v_pk_mul_f32 v[46:47], v[8:9], v[50:51]
	v_add_f32_e32 v34, v46, v34
	v_add_f32_e32 v34, v47, v34
	v_and_b32_e32 v47, 0xffff0000, v48
	v_lshlrev_b32_e32 v46, 16, v48
	v_pk_mul_f32 v[46:47], v[2:3], v[46:47]
	v_add_f32_e32 v34, v46, v34
	v_add_f32_e32 v34, v47, v34
	v_and_b32_e32 v47, 0xffff0000, v49
	v_lshlrev_b32_e32 v46, 16, v49
	v_pk_mul_f32 v[46:47], v[4:5], v[46:47]
	v_add_f32_e32 v34, v46, v34
	v_add_co_u32_e32 v46, vcc, s16, v43
	v_add_f32_e32 v34, v47, v34
	v_addc_co_u32_e32 v47, vcc, 0, v44, vcc
	global_load_dwordx4 v[46:49], v[46:47], off
	s_waitcnt vmcnt(0)
	v_and_b32_e32 v51, 0xffff0000, v46
	v_lshlrev_b32_e32 v50, 16, v46
	v_pk_mul_f32 v[50:51], v[6:7], v[50:51]
	v_add_f32_e32 v33, v50, v33
	v_add_f32_e32 v33, v51, v33
	v_and_b32_e32 v51, 0xffff0000, v47
	v_lshlrev_b32_e32 v50, 16, v47
	v_pk_mul_f32 v[46:47], v[8:9], v[50:51]
	v_add_f32_e32 v33, v46, v33
	v_add_f32_e32 v33, v47, v33
	v_and_b32_e32 v47, 0xffff0000, v48
	v_lshlrev_b32_e32 v46, 16, v48
	v_pk_mul_f32 v[46:47], v[2:3], v[46:47]
	v_add_f32_e32 v33, v46, v33
	v_add_f32_e32 v33, v47, v33
	v_and_b32_e32 v47, 0xffff0000, v49
	v_lshlrev_b32_e32 v46, 16, v49
	v_pk_mul_f32 v[46:47], v[4:5], v[46:47]
	v_add_f32_e32 v33, v46, v33
	v_add_co_u32_e32 v46, vcc, s17, v43
	v_add_f32_e32 v33, v47, v33
	v_addc_co_u32_e32 v47, vcc, 0, v44, vcc
	global_load_dwordx4 v[46:49], v[46:47], off offset:2048
	s_waitcnt vmcnt(0)
	v_and_b32_e32 v51, 0xffff0000, v46
	v_lshlrev_b32_e32 v50, 16, v46
	v_pk_mul_f32 v[50:51], v[6:7], v[50:51]
	v_add_f32_e32 v32, v50, v32
	v_add_f32_e32 v32, v51, v32
	v_and_b32_e32 v51, 0xffff0000, v47
	v_lshlrev_b32_e32 v50, 16, v47
	v_pk_mul_f32 v[46:47], v[8:9], v[50:51]
	v_add_f32_e32 v32, v46, v32
	v_add_f32_e32 v32, v47, v32
	v_and_b32_e32 v47, 0xffff0000, v48
	v_lshlrev_b32_e32 v46, 16, v48
	v_pk_mul_f32 v[46:47], v[2:3], v[46:47]
	v_add_f32_e32 v32, v46, v32
	v_add_f32_e32 v32, v47, v32
	v_and_b32_e32 v47, 0xffff0000, v49
	v_lshlrev_b32_e32 v46, 16, v49
	v_pk_mul_f32 v[46:47], v[4:5], v[46:47]
	v_add_f32_e32 v32, v46, v32
	v_add_co_u32_e32 v46, vcc, s18, v43
	v_add_f32_e32 v32, v47, v32
	v_addc_co_u32_e32 v47, vcc, 0, v44, vcc
	global_load_dwordx4 v[46:49], v[46:47], off
	s_waitcnt vmcnt(0)
	v_and_b32_e32 v51, 0xffff0000, v46
	v_lshlrev_b32_e32 v50, 16, v46
	v_pk_mul_f32 v[50:51], v[6:7], v[50:51]
	v_add_f32_e32 v31, v50, v31
	v_add_f32_e32 v31, v51, v31
	v_and_b32_e32 v51, 0xffff0000, v47
	v_lshlrev_b32_e32 v50, 16, v47
	v_pk_mul_f32 v[46:47], v[8:9], v[50:51]
	v_add_f32_e32 v31, v46, v31
	v_add_f32_e32 v31, v47, v31
	v_and_b32_e32 v47, 0xffff0000, v48
	v_lshlrev_b32_e32 v46, 16, v48
	v_pk_mul_f32 v[46:47], v[2:3], v[46:47]
	v_add_f32_e32 v31, v46, v31
	v_add_f32_e32 v31, v47, v31
	v_and_b32_e32 v47, 0xffff0000, v49
	v_lshlrev_b32_e32 v46, 16, v49
	v_pk_mul_f32 v[46:47], v[4:5], v[46:47]
	v_add_f32_e32 v31, v46, v31
	v_add_co_u32_e32 v46, vcc, s19, v43
	v_add_f32_e32 v31, v47, v31
	v_addc_co_u32_e32 v47, vcc, 0, v44, vcc
	global_load_dwordx4 v[46:49], v[46:47], off offset:2048
	s_waitcnt vmcnt(0)
	v_and_b32_e32 v51, 0xffff0000, v46
	v_lshlrev_b32_e32 v50, 16, v46
	v_pk_mul_f32 v[50:51], v[6:7], v[50:51]
	v_add_f32_e32 v30, v50, v30
	v_add_f32_e32 v30, v51, v30
	v_and_b32_e32 v51, 0xffff0000, v47
	v_lshlrev_b32_e32 v50, 16, v47
	v_pk_mul_f32 v[46:47], v[8:9], v[50:51]
	v_add_f32_e32 v30, v46, v30
	v_add_f32_e32 v30, v47, v30
	v_and_b32_e32 v47, 0xffff0000, v48
	v_lshlrev_b32_e32 v46, 16, v48
	v_pk_mul_f32 v[46:47], v[2:3], v[46:47]
	v_add_f32_e32 v30, v46, v30
	v_add_f32_e32 v30, v47, v30
	v_and_b32_e32 v47, 0xffff0000, v49
	v_lshlrev_b32_e32 v46, 16, v49
	v_pk_mul_f32 v[46:47], v[4:5], v[46:47]
	v_add_f32_e32 v30, v46, v30
	v_add_co_u32_e32 v46, vcc, s20, v43
	v_add_f32_e32 v30, v47, v30
	v_addc_co_u32_e32 v47, vcc, 0, v44, vcc
	global_load_dwordx4 v[46:49], v[46:47], off
	s_waitcnt vmcnt(0)
	v_and_b32_e32 v51, 0xffff0000, v46
	v_lshlrev_b32_e32 v50, 16, v46
	v_pk_mul_f32 v[50:51], v[6:7], v[50:51]
	v_add_f32_e32 v29, v50, v29
	v_add_f32_e32 v29, v51, v29
	v_and_b32_e32 v51, 0xffff0000, v47
	v_lshlrev_b32_e32 v50, 16, v47
	v_pk_mul_f32 v[46:47], v[8:9], v[50:51]
	v_add_f32_e32 v29, v46, v29
	v_add_f32_e32 v29, v47, v29
	v_and_b32_e32 v47, 0xffff0000, v48
	v_lshlrev_b32_e32 v46, 16, v48
	v_pk_mul_f32 v[46:47], v[2:3], v[46:47]
	v_add_f32_e32 v29, v46, v29
	v_add_f32_e32 v29, v47, v29
	v_and_b32_e32 v47, 0xffff0000, v49
	v_lshlrev_b32_e32 v46, 16, v49
	v_pk_mul_f32 v[46:47], v[4:5], v[46:47]
	v_add_f32_e32 v29, v46, v29
	v_add_co_u32_e32 v46, vcc, s21, v43
	v_add_f32_e32 v29, v47, v29
	v_addc_co_u32_e32 v47, vcc, 0, v44, vcc
	global_load_dwordx4 v[46:49], v[46:47], off offset:2048
	s_waitcnt vmcnt(0)
	v_and_b32_e32 v51, 0xffff0000, v46
	v_lshlrev_b32_e32 v50, 16, v46
	v_pk_mul_f32 v[50:51], v[6:7], v[50:51]
	v_add_f32_e32 v28, v50, v28
	v_add_f32_e32 v28, v51, v28
	v_and_b32_e32 v51, 0xffff0000, v47
	v_lshlrev_b32_e32 v50, 16, v47
	v_pk_mul_f32 v[46:47], v[8:9], v[50:51]
	v_add_f32_e32 v28, v46, v28
	v_add_f32_e32 v28, v47, v28
	v_and_b32_e32 v47, 0xffff0000, v48
	v_lshlrev_b32_e32 v46, 16, v48
	v_pk_mul_f32 v[46:47], v[2:3], v[46:47]
	v_add_f32_e32 v28, v46, v28
	v_add_f32_e32 v28, v47, v28
	v_and_b32_e32 v47, 0xffff0000, v49
	v_lshlrev_b32_e32 v46, 16, v49
	v_pk_mul_f32 v[46:47], v[4:5], v[46:47]
	v_add_f32_e32 v28, v46, v28
	v_add_co_u32_e32 v46, vcc, s22, v43
	v_add_f32_e32 v28, v47, v28
	v_addc_co_u32_e32 v47, vcc, 0, v44, vcc
	global_load_dwordx4 v[46:49], v[46:47], off
	s_waitcnt vmcnt(0)
	v_and_b32_e32 v51, 0xffff0000, v46
	v_lshlrev_b32_e32 v50, 16, v46
	v_pk_mul_f32 v[50:51], v[6:7], v[50:51]
	v_add_f32_e32 v27, v50, v27
	v_add_f32_e32 v27, v51, v27
	v_and_b32_e32 v51, 0xffff0000, v47
	v_lshlrev_b32_e32 v50, 16, v47
	v_pk_mul_f32 v[46:47], v[8:9], v[50:51]
	v_add_f32_e32 v27, v46, v27
	v_add_f32_e32 v27, v47, v27
	v_and_b32_e32 v47, 0xffff0000, v48
	v_lshlrev_b32_e32 v46, 16, v48
	v_pk_mul_f32 v[46:47], v[2:3], v[46:47]
	v_add_f32_e32 v27, v46, v27
	v_add_f32_e32 v27, v47, v27
	v_and_b32_e32 v47, 0xffff0000, v49
	v_lshlrev_b32_e32 v46, 16, v49
	v_pk_mul_f32 v[46:47], v[4:5], v[46:47]
	v_add_f32_e32 v27, v46, v27
	v_add_co_u32_e32 v46, vcc, s23, v43
	v_add_f32_e32 v27, v47, v27
	v_addc_co_u32_e32 v47, vcc, 0, v44, vcc
	global_load_dwordx4 v[46:49], v[46:47], off offset:2048
	s_waitcnt vmcnt(0)
	v_and_b32_e32 v51, 0xffff0000, v46
	v_lshlrev_b32_e32 v50, 16, v46
	v_pk_mul_f32 v[50:51], v[6:7], v[50:51]
	v_add_f32_e32 v26, v50, v26
	v_add_f32_e32 v26, v51, v26
	v_and_b32_e32 v51, 0xffff0000, v47
	v_lshlrev_b32_e32 v50, 16, v47
	v_pk_mul_f32 v[46:47], v[8:9], v[50:51]
	v_add_f32_e32 v26, v46, v26
	v_add_f32_e32 v26, v47, v26
	v_and_b32_e32 v47, 0xffff0000, v48
	v_lshlrev_b32_e32 v46, 16, v48
	v_pk_mul_f32 v[46:47], v[2:3], v[46:47]
	v_add_f32_e32 v26, v46, v26
	v_add_f32_e32 v26, v47, v26
	v_and_b32_e32 v47, 0xffff0000, v49
	v_lshlrev_b32_e32 v46, 16, v49
	v_pk_mul_f32 v[46:47], v[4:5], v[46:47]
	v_add_f32_e32 v26, v46, v26
	v_add_co_u32_e32 v46, vcc, s24, v43
	v_add_f32_e32 v26, v47, v26
	v_addc_co_u32_e32 v47, vcc, 0, v44, vcc
	global_load_dwordx4 v[46:49], v[46:47], off
	s_waitcnt vmcnt(0)
	v_and_b32_e32 v51, 0xffff0000, v46
	v_lshlrev_b32_e32 v50, 16, v46
	v_pk_mul_f32 v[50:51], v[6:7], v[50:51]
	v_add_f32_e32 v24, v50, v24
	v_add_f32_e32 v24, v51, v24
	v_and_b32_e32 v51, 0xffff0000, v47
	v_lshlrev_b32_e32 v50, 16, v47
	v_pk_mul_f32 v[46:47], v[8:9], v[50:51]
	v_add_f32_e32 v24, v46, v24
	v_add_f32_e32 v24, v47, v24
	v_and_b32_e32 v47, 0xffff0000, v48
	v_lshlrev_b32_e32 v46, 16, v48
	v_pk_mul_f32 v[46:47], v[2:3], v[46:47]
	v_add_f32_e32 v24, v46, v24
	v_add_f32_e32 v24, v47, v24
	v_and_b32_e32 v47, 0xffff0000, v49
	v_lshlrev_b32_e32 v46, 16, v49
	v_pk_mul_f32 v[46:47], v[4:5], v[46:47]
	v_add_f32_e32 v24, v46, v24
	v_add_co_u32_e32 v46, vcc, s25, v43
	v_add_f32_e32 v24, v47, v24
	v_addc_co_u32_e32 v47, vcc, 0, v44, vcc
	global_load_dwordx4 v[46:49], v[46:47], off offset:2048
	s_waitcnt vmcnt(0)
	v_and_b32_e32 v51, 0xffff0000, v46
	v_lshlrev_b32_e32 v50, 16, v46
	v_pk_mul_f32 v[50:51], v[6:7], v[50:51]
	v_add_f32_e32 v23, v50, v23
	v_add_f32_e32 v23, v51, v23
	v_and_b32_e32 v51, 0xffff0000, v47
	v_lshlrev_b32_e32 v50, 16, v47
	v_pk_mul_f32 v[46:47], v[8:9], v[50:51]
	v_add_f32_e32 v23, v46, v23
	v_add_f32_e32 v23, v47, v23
	v_and_b32_e32 v47, 0xffff0000, v48
	v_lshlrev_b32_e32 v46, 16, v48
	v_pk_mul_f32 v[46:47], v[2:3], v[46:47]
	v_add_f32_e32 v23, v46, v23
	v_add_f32_e32 v23, v47, v23
	v_and_b32_e32 v47, 0xffff0000, v49
	v_lshlrev_b32_e32 v46, 16, v49
	v_pk_mul_f32 v[46:47], v[4:5], v[46:47]
	v_add_f32_e32 v23, v46, v23
	v_add_co_u32_e32 v46, vcc, s26, v43
	v_add_f32_e32 v23, v47, v23
	v_addc_co_u32_e32 v47, vcc, 0, v44, vcc
	global_load_dwordx4 v[46:49], v[46:47], off
	s_waitcnt vmcnt(0)
	v_and_b32_e32 v51, 0xffff0000, v46
	v_lshlrev_b32_e32 v50, 16, v46
	v_pk_mul_f32 v[50:51], v[6:7], v[50:51]
	v_add_f32_e32 v22, v50, v22
	v_add_f32_e32 v22, v51, v22
	v_and_b32_e32 v51, 0xffff0000, v47
	v_lshlrev_b32_e32 v50, 16, v47
	v_pk_mul_f32 v[46:47], v[8:9], v[50:51]
	v_add_f32_e32 v22, v46, v22
	v_add_f32_e32 v22, v47, v22
	v_and_b32_e32 v47, 0xffff0000, v48
	v_lshlrev_b32_e32 v46, 16, v48
	v_pk_mul_f32 v[46:47], v[2:3], v[46:47]
	v_add_f32_e32 v22, v46, v22
	v_add_f32_e32 v22, v47, v22
	v_and_b32_e32 v47, 0xffff0000, v49
	v_lshlrev_b32_e32 v46, 16, v49
	v_pk_mul_f32 v[46:47], v[4:5], v[46:47]
	v_add_f32_e32 v22, v46, v22
	v_add_co_u32_e32 v46, vcc, s27, v43
	v_add_f32_e32 v22, v47, v22
	v_addc_co_u32_e32 v47, vcc, 0, v44, vcc
	global_load_dwordx4 v[46:49], v[46:47], off offset:2048
	s_waitcnt vmcnt(0)
	v_and_b32_e32 v51, 0xffff0000, v46
	v_lshlrev_b32_e32 v50, 16, v46
	v_pk_mul_f32 v[50:51], v[6:7], v[50:51]
	v_add_f32_e32 v21, v50, v21
	v_add_f32_e32 v21, v51, v21
	v_and_b32_e32 v51, 0xffff0000, v47
	v_lshlrev_b32_e32 v50, 16, v47
	v_pk_mul_f32 v[46:47], v[8:9], v[50:51]
	v_add_f32_e32 v21, v46, v21
	v_add_f32_e32 v21, v47, v21
	v_and_b32_e32 v47, 0xffff0000, v48
	v_lshlrev_b32_e32 v46, 16, v48
	v_pk_mul_f32 v[46:47], v[2:3], v[46:47]
	v_add_f32_e32 v21, v46, v21
	v_add_f32_e32 v21, v47, v21
	v_and_b32_e32 v47, 0xffff0000, v49
	v_lshlrev_b32_e32 v46, 16, v49
	v_pk_mul_f32 v[46:47], v[4:5], v[46:47]
	v_add_f32_e32 v21, v46, v21
	v_add_co_u32_e32 v46, vcc, s28, v43
	v_add_f32_e32 v21, v47, v21
	v_addc_co_u32_e32 v47, vcc, 0, v44, vcc
	global_load_dwordx4 v[46:49], v[46:47], off
	s_waitcnt vmcnt(0)
	v_and_b32_e32 v51, 0xffff0000, v46
	v_lshlrev_b32_e32 v50, 16, v46
	v_pk_mul_f32 v[50:51], v[6:7], v[50:51]
	v_add_f32_e32 v20, v50, v20
	v_add_f32_e32 v20, v51, v20
	v_and_b32_e32 v51, 0xffff0000, v47
	v_lshlrev_b32_e32 v50, 16, v47
	v_pk_mul_f32 v[46:47], v[8:9], v[50:51]
	v_add_f32_e32 v20, v46, v20
	v_add_f32_e32 v20, v47, v20
	v_and_b32_e32 v47, 0xffff0000, v48
	v_lshlrev_b32_e32 v46, 16, v48
	v_pk_mul_f32 v[46:47], v[2:3], v[46:47]
	v_add_f32_e32 v20, v46, v20
	v_add_f32_e32 v20, v47, v20
	v_and_b32_e32 v47, 0xffff0000, v49
	v_lshlrev_b32_e32 v46, 16, v49
	v_pk_mul_f32 v[46:47], v[4:5], v[46:47]
	v_add_f32_e32 v20, v46, v20
	v_add_co_u32_e32 v46, vcc, s29, v43
	v_add_f32_e32 v20, v47, v20
	v_addc_co_u32_e32 v47, vcc, 0, v44, vcc
	global_load_dwordx4 v[46:49], v[46:47], off offset:2048
	s_waitcnt vmcnt(0)
	v_and_b32_e32 v51, 0xffff0000, v46
	v_lshlrev_b32_e32 v50, 16, v46
	v_pk_mul_f32 v[50:51], v[6:7], v[50:51]
	v_add_f32_e32 v19, v50, v19
	v_add_f32_e32 v19, v51, v19
	v_and_b32_e32 v51, 0xffff0000, v47
	v_lshlrev_b32_e32 v50, 16, v47
	v_pk_mul_f32 v[46:47], v[8:9], v[50:51]
	v_add_f32_e32 v19, v46, v19
	v_add_f32_e32 v19, v47, v19
	v_and_b32_e32 v47, 0xffff0000, v48
	v_lshlrev_b32_e32 v46, 16, v48
	v_pk_mul_f32 v[46:47], v[2:3], v[46:47]
	v_add_f32_e32 v19, v46, v19
	v_add_f32_e32 v19, v47, v19
	v_and_b32_e32 v47, 0xffff0000, v49
	v_lshlrev_b32_e32 v46, 16, v49
	v_pk_mul_f32 v[46:47], v[4:5], v[46:47]
	v_add_f32_e32 v19, v46, v19
	v_add_co_u32_e32 v46, vcc, s30, v43
	v_add_f32_e32 v19, v47, v19
	v_addc_co_u32_e32 v47, vcc, 0, v44, vcc
	global_load_dwordx4 v[46:49], v[46:47], off
	s_waitcnt vmcnt(0)
	v_and_b32_e32 v51, 0xffff0000, v46
	v_lshlrev_b32_e32 v50, 16, v46
	v_pk_mul_f32 v[50:51], v[6:7], v[50:51]
	v_add_f32_e32 v18, v50, v18
	v_add_f32_e32 v18, v51, v18
	v_and_b32_e32 v51, 0xffff0000, v47
	v_lshlrev_b32_e32 v50, 16, v47
	v_pk_mul_f32 v[46:47], v[8:9], v[50:51]
	v_add_f32_e32 v18, v46, v18
	v_add_f32_e32 v18, v47, v18
	v_and_b32_e32 v47, 0xffff0000, v48
	v_lshlrev_b32_e32 v46, 16, v48
	v_pk_mul_f32 v[46:47], v[2:3], v[46:47]
	v_add_f32_e32 v18, v46, v18
	v_add_f32_e32 v18, v47, v18
	v_and_b32_e32 v47, 0xffff0000, v49
	v_lshlrev_b32_e32 v46, 16, v49
	v_pk_mul_f32 v[46:47], v[4:5], v[46:47]
	v_add_f32_e32 v18, v46, v18
	v_add_co_u32_e32 v46, vcc, s31, v43
	v_add_f32_e32 v18, v47, v18
	v_addc_co_u32_e32 v47, vcc, 0, v44, vcc
	global_load_dwordx4 v[46:49], v[46:47], off offset:2048
	s_waitcnt vmcnt(0)
	v_and_b32_e32 v51, 0xffff0000, v46
	v_lshlrev_b32_e32 v50, 16, v46
	v_pk_mul_f32 v[50:51], v[6:7], v[50:51]
	v_add_f32_e32 v17, v50, v17
	v_add_f32_e32 v17, v51, v17
	v_and_b32_e32 v51, 0xffff0000, v47
	v_lshlrev_b32_e32 v50, 16, v47
	v_pk_mul_f32 v[46:47], v[8:9], v[50:51]
	v_add_f32_e32 v17, v46, v17
	v_add_f32_e32 v17, v47, v17
	v_and_b32_e32 v47, 0xffff0000, v48
	v_lshlrev_b32_e32 v46, 16, v48
	v_pk_mul_f32 v[46:47], v[2:3], v[46:47]
	v_add_f32_e32 v17, v46, v17
	v_add_f32_e32 v17, v47, v17
	v_and_b32_e32 v47, 0xffff0000, v49
	v_lshlrev_b32_e32 v46, 16, v49
	v_pk_mul_f32 v[46:47], v[4:5], v[46:47]
	v_add_f32_e32 v17, v46, v17
	v_add_co_u32_e32 v46, vcc, s33, v43
	v_add_f32_e32 v17, v47, v17
	v_addc_co_u32_e32 v47, vcc, 0, v44, vcc
	global_load_dwordx4 v[46:49], v[46:47], off
	s_waitcnt vmcnt(0)
	v_and_b32_e32 v51, 0xffff0000, v46
	v_lshlrev_b32_e32 v50, 16, v46
	v_pk_mul_f32 v[50:51], v[6:7], v[50:51]
	v_add_f32_e32 v16, v50, v16
	v_add_f32_e32 v16, v51, v16
	v_and_b32_e32 v51, 0xffff0000, v47
	v_lshlrev_b32_e32 v50, 16, v47
	v_pk_mul_f32 v[46:47], v[8:9], v[50:51]
	v_add_f32_e32 v16, v46, v16
	v_add_f32_e32 v16, v47, v16
	v_and_b32_e32 v47, 0xffff0000, v48
	v_lshlrev_b32_e32 v46, 16, v48
	v_pk_mul_f32 v[46:47], v[2:3], v[46:47]
	v_add_f32_e32 v16, v46, v16
	v_add_f32_e32 v16, v47, v16
	v_and_b32_e32 v47, 0xffff0000, v49
	v_lshlrev_b32_e32 v46, 16, v49
	v_pk_mul_f32 v[46:47], v[4:5], v[46:47]
	v_add_f32_e32 v16, v46, v16
	v_add_co_u32_e32 v46, vcc, s34, v43
	v_add_f32_e32 v16, v47, v16
	v_addc_co_u32_e32 v47, vcc, 0, v44, vcc
	global_load_dwordx4 v[46:49], v[46:47], off offset:2048
	s_waitcnt vmcnt(0)
	v_and_b32_e32 v51, 0xffff0000, v46
	v_lshlrev_b32_e32 v50, 16, v46
	v_pk_mul_f32 v[50:51], v[6:7], v[50:51]
	v_add_f32_e32 v15, v50, v15
	v_add_f32_e32 v15, v51, v15
	v_and_b32_e32 v51, 0xffff0000, v47
	v_lshlrev_b32_e32 v50, 16, v47
	v_pk_mul_f32 v[46:47], v[8:9], v[50:51]
	v_add_f32_e32 v15, v46, v15
	v_add_f32_e32 v15, v47, v15
	v_and_b32_e32 v47, 0xffff0000, v48
	v_lshlrev_b32_e32 v46, 16, v48
	v_pk_mul_f32 v[46:47], v[2:3], v[46:47]
	v_add_f32_e32 v15, v46, v15
	v_add_f32_e32 v15, v47, v15
	v_and_b32_e32 v47, 0xffff0000, v49
	v_lshlrev_b32_e32 v46, 16, v49
	v_pk_mul_f32 v[46:47], v[4:5], v[46:47]
	v_add_f32_e32 v15, v46, v15
	v_add_co_u32_e32 v46, vcc, s35, v43
	v_add_f32_e32 v15, v47, v15
	v_addc_co_u32_e32 v47, vcc, 0, v44, vcc
	global_load_dwordx4 v[46:49], v[46:47], off
	s_waitcnt vmcnt(0)
	v_and_b32_e32 v51, 0xffff0000, v46
	v_lshlrev_b32_e32 v50, 16, v46
	v_pk_mul_f32 v[50:51], v[6:7], v[50:51]
	v_add_f32_e32 v14, v50, v14
	v_add_f32_e32 v14, v51, v14
	v_and_b32_e32 v51, 0xffff0000, v47
	v_lshlrev_b32_e32 v50, 16, v47
	v_pk_mul_f32 v[46:47], v[8:9], v[50:51]
	v_add_f32_e32 v14, v46, v14
	v_add_f32_e32 v14, v47, v14
	v_and_b32_e32 v47, 0xffff0000, v48
	v_lshlrev_b32_e32 v46, 16, v48
	v_pk_mul_f32 v[46:47], v[2:3], v[46:47]
	v_add_f32_e32 v14, v46, v14
	v_add_f32_e32 v14, v47, v14
	v_and_b32_e32 v47, 0xffff0000, v49
	v_lshlrev_b32_e32 v46, 16, v49
	v_pk_mul_f32 v[46:47], v[4:5], v[46:47]
	v_add_f32_e32 v14, v46, v14
	v_add_co_u32_e32 v46, vcc, s36, v43
	v_add_f32_e32 v14, v47, v14
	v_addc_co_u32_e32 v47, vcc, 0, v44, vcc
	global_load_dwordx4 v[46:49], v[46:47], off offset:2048
	s_waitcnt vmcnt(0)
	v_and_b32_e32 v51, 0xffff0000, v46
	v_lshlrev_b32_e32 v50, 16, v46
	v_pk_mul_f32 v[50:51], v[6:7], v[50:51]
	v_add_f32_e32 v13, v50, v13
	v_add_f32_e32 v13, v51, v13
	v_and_b32_e32 v51, 0xffff0000, v47
	v_lshlrev_b32_e32 v50, 16, v47
	v_pk_mul_f32 v[46:47], v[8:9], v[50:51]
	v_add_f32_e32 v13, v46, v13
	v_add_f32_e32 v13, v47, v13
	v_and_b32_e32 v47, 0xffff0000, v48
	v_lshlrev_b32_e32 v46, 16, v48
	v_pk_mul_f32 v[46:47], v[2:3], v[46:47]
	v_add_f32_e32 v13, v46, v13
	v_add_f32_e32 v13, v47, v13
	v_and_b32_e32 v47, 0xffff0000, v49
	v_lshlrev_b32_e32 v46, 16, v49
	v_pk_mul_f32 v[46:47], v[4:5], v[46:47]
	v_add_f32_e32 v13, v46, v13
	v_add_co_u32_e32 v46, vcc, s37, v43
	v_add_f32_e32 v13, v47, v13
	v_addc_co_u32_e32 v47, vcc, 0, v44, vcc
	global_load_dwordx4 v[46:49], v[46:47], off
	s_waitcnt vmcnt(0)
	v_and_b32_e32 v51, 0xffff0000, v46
	v_lshlrev_b32_e32 v50, 16, v46
	v_pk_mul_f32 v[50:51], v[6:7], v[50:51]
	v_add_f32_e32 v11, v50, v11
	v_add_f32_e32 v11, v51, v11
	v_and_b32_e32 v51, 0xffff0000, v47
	v_lshlrev_b32_e32 v50, 16, v47
	v_pk_mul_f32 v[46:47], v[8:9], v[50:51]
	v_add_f32_e32 v11, v46, v11
	v_add_f32_e32 v11, v47, v11
	;; [unrolled: 5-line block ×3, first 2 shown]
	v_and_b32_e32 v47, 0xffff0000, v49
	v_lshlrev_b32_e32 v46, 16, v49
	v_pk_mul_f32 v[46:47], v[4:5], v[46:47]
	v_add_f32_e32 v11, v46, v11
	v_add_co_u32_e32 v46, vcc, s38, v43
	v_add_f32_e32 v11, v47, v11
	v_addc_co_u32_e32 v47, vcc, 0, v44, vcc
	global_load_dwordx4 v[44:47], v[46:47], off offset:2048
	s_waitcnt vmcnt(0)
	v_and_b32_e32 v49, 0xffff0000, v44
	v_lshlrev_b32_e32 v48, 16, v44
	v_pk_mul_f32 v[6:7], v[6:7], v[48:49]
	v_add_f32_e32 v6, v6, v25
	v_add_f32_e32 v25, v7, v6
	v_and_b32_e32 v7, 0xffff0000, v45
	v_lshlrev_b32_e32 v6, 16, v45
	v_pk_mul_f32 v[6:7], v[8:9], v[6:7]
	v_add_f32_e32 v6, v6, v25
	v_add_f32_e32 v8, v7, v6
	;; [unrolled: 5-line block ×4, first 2 shown]
	s_cbranch_scc0 .LBB61_1
; %bb.2:
	v_mbcnt_lo_u32_b32 v1, -1, 0
	v_mbcnt_hi_u32_b32 v5, -1, v1
	v_and_b32_e32 v2, 64, v5
	v_xor_b32_e32 v1, 16, v5
	v_add_u32_e32 v6, 64, v2
	v_cmp_lt_i32_e32 vcc, v1, v6
	v_cndmask_b32_e32 v1, v5, v1, vcc
	v_lshlrev_b32_e32 v1, 2, v1
	ds_bpermute_b32 v3, v1, v40
	v_xor_b32_e32 v2, 8, v5
	v_cmp_lt_i32_e32 vcc, v2, v6
	v_cndmask_b32_e32 v2, v5, v2, vcc
	v_lshlrev_b32_e32 v2, 2, v2
	s_waitcnt lgkmcnt(0)
	v_add_f32_e32 v4, v40, v3
	ds_bpermute_b32 v7, v2, v4
	v_xor_b32_e32 v3, 4, v5
	v_cmp_lt_i32_e32 vcc, v3, v6
	v_cndmask_b32_e32 v3, v5, v3, vcc
	v_lshlrev_b32_e32 v3, 2, v3
	s_waitcnt lgkmcnt(0)
	v_add_f32_e32 v7, v4, v7
	;; [unrolled: 7-line block ×4, first 2 shown]
	ds_bpermute_b32 v8, v6, v7
	v_lshrrev_b32_e32 v5, 5, v0
	v_and_b32_e32 v9, 31, v0
	v_cmp_eq_u32_e32 vcc, 0, v9
	v_lshlrev_b32_e32 v5, 2, v5
	s_and_saveexec_b64 s[2:3], vcc
	s_cbranch_execz .LBB61_4
; %bb.3:
	s_waitcnt lgkmcnt(0)
	v_add_f32_e32 v7, v7, v8
	ds_write_b32 v5, v7
.LBB61_4:
	s_or_b64 exec, exec, s[2:3]
	ds_bpermute_b32 v7, v1, v42
	s_waitcnt lgkmcnt(0)
	v_add_f32_e32 v7, v42, v7
	ds_bpermute_b32 v8, v2, v7
	s_waitcnt lgkmcnt(0)
	v_add_f32_e32 v7, v7, v8
	ds_bpermute_b32 v8, v3, v7
	s_waitcnt lgkmcnt(0)
	v_add_f32_e32 v7, v7, v8
	ds_bpermute_b32 v8, v4, v7
	s_waitcnt lgkmcnt(0)
	v_add_f32_e32 v7, v7, v8
	ds_bpermute_b32 v8, v6, v7
	s_and_saveexec_b64 s[2:3], vcc
	s_cbranch_execz .LBB61_6
; %bb.5:
	s_waitcnt lgkmcnt(0)
	v_add_f32_e32 v7, v7, v8
	ds_write_b32 v5, v7 offset:16
.LBB61_6:
	s_or_b64 exec, exec, s[2:3]
	ds_bpermute_b32 v7, v1, v39
	s_waitcnt lgkmcnt(0)
	v_add_f32_e32 v7, v39, v7
	ds_bpermute_b32 v8, v2, v7
	s_waitcnt lgkmcnt(0)
	v_add_f32_e32 v7, v7, v8
	ds_bpermute_b32 v8, v3, v7
	s_waitcnt lgkmcnt(0)
	v_add_f32_e32 v7, v7, v8
	ds_bpermute_b32 v8, v4, v7
	s_waitcnt lgkmcnt(0)
	v_add_f32_e32 v7, v7, v8
	ds_bpermute_b32 v8, v6, v7
	s_and_saveexec_b64 s[2:3], vcc
	s_cbranch_execz .LBB61_8
; %bb.7:
	s_waitcnt lgkmcnt(0)
	v_add_f32_e32 v7, v7, v8
	ds_write_b32 v5, v7 offset:32
.LBB61_8:
	;; [unrolled: 21-line block ×29, first 2 shown]
	s_or_b64 exec, exec, s[2:3]
	v_cmp_eq_u32_e32 vcc, 0, v0
	s_waitcnt lgkmcnt(0)
	s_barrier
	s_and_saveexec_b64 s[2:3], vcc
	s_cbranch_execz .LBB61_64
; %bb.63:
	v_mov_b32_e32 v16, 0
	ds_read_b128 v[0:3], v16
	s_ashr_i32 s7, s6, 31
	ds_read_b128 v[4:7], v16 offset:16
	ds_read_b128 v[8:11], v16 offset:32
	;; [unrolled: 1-line block ×3, first 2 shown]
	s_lshl_b64 s[2:3], s[6:7], 2
	s_add_u32 s0, s0, s2
	s_waitcnt lgkmcnt(3)
	v_add_f32_e32 v0, 0, v0
	v_add_f32_e32 v0, v0, v1
	;; [unrolled: 1-line block ×4, first 2 shown]
	s_addc_u32 s1, s1, s3
	global_store_dword v16, v0, s[0:1]
	s_waitcnt lgkmcnt(2)
	v_add_f32_e32 v0, 0, v4
	v_add_f32_e32 v0, v0, v5
	;; [unrolled: 1-line block ×4, first 2 shown]
	global_store_dword v16, v0, s[0:1] offset:1024
	s_waitcnt lgkmcnt(1)
	v_add_f32_e32 v0, 0, v8
	v_add_f32_e32 v0, v0, v9
	;; [unrolled: 1-line block ×4, first 2 shown]
	global_store_dword v16, v0, s[0:1] offset:2048
	s_waitcnt lgkmcnt(0)
	v_add_f32_e32 v0, 0, v12
	v_add_f32_e32 v4, v0, v13
	ds_read_b128 v[0:3], v16 offset:64
	v_add_f32_e32 v4, v4, v14
	v_add_f32_e32 v4, v4, v15
	global_store_dword v16, v4, s[0:1] offset:3072
	ds_read_b128 v[4:7], v16 offset:80
	s_waitcnt lgkmcnt(1)
	v_add_f32_e32 v0, 0, v0
	v_add_f32_e32 v0, v0, v1
	;; [unrolled: 1-line block ×4, first 2 shown]
	v_mov_b32_e32 v8, 0x1000
	global_store_dword v8, v0, s[0:1]
	s_waitcnt lgkmcnt(0)
	v_add_f32_e32 v0, 0, v4
	v_add_f32_e32 v4, v0, v5
	ds_read_b128 v[0:3], v16 offset:96
	v_add_f32_e32 v4, v4, v6
	v_add_f32_e32 v4, v4, v7
	global_store_dword v8, v4, s[0:1] offset:1024
	ds_read_b128 v[4:7], v16 offset:112
	s_waitcnt lgkmcnt(1)
	v_add_f32_e32 v0, 0, v0
	v_add_f32_e32 v0, v0, v1
	;; [unrolled: 1-line block ×4, first 2 shown]
	global_store_dword v8, v0, s[0:1] offset:2048
	s_waitcnt lgkmcnt(0)
	v_add_f32_e32 v0, 0, v4
	v_add_f32_e32 v4, v0, v5
	ds_read_b128 v[0:3], v16 offset:128
	v_add_f32_e32 v4, v4, v6
	v_add_f32_e32 v4, v4, v7
	global_store_dword v8, v4, s[0:1] offset:3072
	ds_read_b128 v[4:7], v16 offset:144
	s_waitcnt lgkmcnt(1)
	v_add_f32_e32 v0, 0, v0
	v_add_f32_e32 v0, v0, v1
	;; [unrolled: 1-line block ×4, first 2 shown]
	v_mov_b32_e32 v12, 0x2000
	global_store_dword v12, v0, s[0:1]
	ds_read_b128 v[0:3], v16 offset:160
	ds_read_b128 v[8:11], v16 offset:176
	s_waitcnt lgkmcnt(2)
	v_add_f32_e32 v4, 0, v4
	v_add_f32_e32 v4, v4, v5
	;; [unrolled: 1-line block ×3, first 2 shown]
	s_waitcnt lgkmcnt(1)
	v_add_f32_e32 v0, 0, v0
	v_add_f32_e32 v0, v0, v1
	;; [unrolled: 1-line block ×5, first 2 shown]
	global_store_dword v12, v0, s[0:1] offset:2048
	s_waitcnt lgkmcnt(0)
	v_add_f32_e32 v0, 0, v8
	global_store_dword v12, v4, s[0:1] offset:1024
	v_add_f32_e32 v4, v0, v9
	ds_read_b128 v[0:3], v16 offset:192
	v_add_f32_e32 v4, v4, v10
	v_add_f32_e32 v4, v4, v11
	global_store_dword v12, v4, s[0:1] offset:3072
	ds_read_b128 v[4:7], v16 offset:208
	s_waitcnt lgkmcnt(1)
	v_add_f32_e32 v0, 0, v0
	v_add_f32_e32 v0, v0, v1
	;; [unrolled: 1-line block ×4, first 2 shown]
	v_mov_b32_e32 v8, 0x3000
	global_store_dword v8, v0, s[0:1]
	s_waitcnt lgkmcnt(0)
	v_add_f32_e32 v0, 0, v4
	v_add_f32_e32 v4, v0, v5
	ds_read_b128 v[0:3], v16 offset:224
	v_add_f32_e32 v4, v4, v6
	v_add_f32_e32 v4, v4, v7
	global_store_dword v8, v4, s[0:1] offset:1024
	ds_read_b128 v[4:7], v16 offset:240
	s_waitcnt lgkmcnt(1)
	v_add_f32_e32 v0, 0, v0
	v_add_f32_e32 v0, v0, v1
	;; [unrolled: 1-line block ×4, first 2 shown]
	global_store_dword v8, v0, s[0:1] offset:2048
	s_waitcnt lgkmcnt(0)
	v_add_f32_e32 v0, 0, v4
	v_add_f32_e32 v4, v0, v5
	ds_read_b128 v[0:3], v16 offset:256
	v_add_f32_e32 v4, v4, v6
	v_add_f32_e32 v4, v4, v7
	global_store_dword v8, v4, s[0:1] offset:3072
	ds_read_b128 v[4:7], v16 offset:272
	s_waitcnt lgkmcnt(1)
	v_add_f32_e32 v0, 0, v0
	v_add_f32_e32 v0, v0, v1
	v_add_f32_e32 v0, v0, v2
	v_add_f32_e32 v0, v0, v3
	v_mov_b32_e32 v12, 0x4000
	global_store_dword v12, v0, s[0:1]
	ds_read_b128 v[0:3], v16 offset:288
	ds_read_b128 v[8:11], v16 offset:304
	s_waitcnt lgkmcnt(2)
	v_add_f32_e32 v4, 0, v4
	v_add_f32_e32 v4, v4, v5
	;; [unrolled: 1-line block ×3, first 2 shown]
	s_waitcnt lgkmcnt(1)
	v_add_f32_e32 v0, 0, v0
	v_add_f32_e32 v0, v0, v1
	;; [unrolled: 1-line block ×5, first 2 shown]
	global_store_dword v12, v0, s[0:1] offset:2048
	s_waitcnt lgkmcnt(0)
	v_add_f32_e32 v0, 0, v8
	global_store_dword v12, v4, s[0:1] offset:1024
	v_add_f32_e32 v4, v0, v9
	ds_read_b128 v[0:3], v16 offset:320
	v_add_f32_e32 v4, v4, v10
	v_add_f32_e32 v4, v4, v11
	global_store_dword v12, v4, s[0:1] offset:3072
	ds_read_b128 v[4:7], v16 offset:336
	s_waitcnt lgkmcnt(1)
	v_add_f32_e32 v0, 0, v0
	v_add_f32_e32 v0, v0, v1
	;; [unrolled: 1-line block ×4, first 2 shown]
	v_mov_b32_e32 v8, 0x5000
	global_store_dword v8, v0, s[0:1]
	s_waitcnt lgkmcnt(0)
	v_add_f32_e32 v0, 0, v4
	v_add_f32_e32 v4, v0, v5
	ds_read_b128 v[0:3], v16 offset:352
	v_add_f32_e32 v4, v4, v6
	v_add_f32_e32 v4, v4, v7
	global_store_dword v8, v4, s[0:1] offset:1024
	ds_read_b128 v[4:7], v16 offset:368
	s_waitcnt lgkmcnt(1)
	v_add_f32_e32 v0, 0, v0
	v_add_f32_e32 v0, v0, v1
	;; [unrolled: 1-line block ×4, first 2 shown]
	global_store_dword v8, v0, s[0:1] offset:2048
	s_waitcnt lgkmcnt(0)
	v_add_f32_e32 v0, 0, v4
	v_add_f32_e32 v4, v0, v5
	ds_read_b128 v[0:3], v16 offset:384
	v_add_f32_e32 v4, v4, v6
	v_add_f32_e32 v4, v4, v7
	global_store_dword v8, v4, s[0:1] offset:3072
	ds_read_b128 v[4:7], v16 offset:400
	s_waitcnt lgkmcnt(1)
	v_add_f32_e32 v0, 0, v0
	v_add_f32_e32 v0, v0, v1
	;; [unrolled: 1-line block ×4, first 2 shown]
	v_mov_b32_e32 v17, 0x6000
	global_store_dword v17, v0, s[0:1]
	s_waitcnt lgkmcnt(0)
	v_add_f32_e32 v0, 0, v4
	v_add_f32_e32 v0, v0, v5
	v_add_f32_e32 v0, v0, v6
	v_add_f32_e32 v4, v0, v7
	ds_read_b128 v[0:3], v16 offset:416
	global_store_dword v17, v4, s[0:1] offset:1024
	ds_read_b128 v[4:7], v16 offset:432
	ds_read_b128 v[8:11], v16 offset:448
	;; [unrolled: 1-line block ×3, first 2 shown]
	s_waitcnt lgkmcnt(3)
	v_add_f32_e32 v0, 0, v0
	v_add_f32_e32 v0, v0, v1
	v_add_f32_e32 v0, v0, v2
	v_add_f32_e32 v0, v0, v3
	global_store_dword v17, v0, s[0:1] offset:2048
	s_waitcnt lgkmcnt(2)
	v_add_f32_e32 v0, 0, v4
	v_add_f32_e32 v0, v0, v5
	;; [unrolled: 1-line block ×4, first 2 shown]
	global_store_dword v17, v0, s[0:1] offset:3072
	s_waitcnt lgkmcnt(1)
	v_add_f32_e32 v0, 0, v8
	v_add_f32_e32 v0, v0, v9
	;; [unrolled: 1-line block ×4, first 2 shown]
	v_mov_b32_e32 v1, 0x7000
	global_store_dword v1, v0, s[0:1]
	s_waitcnt lgkmcnt(0)
	v_add_f32_e32 v0, 0, v12
	v_add_f32_e32 v0, v0, v13
	v_add_f32_e32 v0, v0, v14
	v_add_f32_e32 v0, v0, v15
	global_store_dword v1, v0, s[0:1] offset:1024
.LBB61_64:
	s_endpgm
	.section	.rodata,"a",@progbits
	.p2align	6, 0x0
	.amdhsa_kernel _Z23fp32_router_gemm_kernelI14__hip_bfloat16Li128ELi30ELi256ELi3072EEvPfPKT_PKf
		.amdhsa_group_segment_fixed_size 480
		.amdhsa_private_segment_fixed_size 0
		.amdhsa_kernarg_size 24
		.amdhsa_user_sgpr_count 6
		.amdhsa_user_sgpr_private_segment_buffer 1
		.amdhsa_user_sgpr_dispatch_ptr 0
		.amdhsa_user_sgpr_queue_ptr 0
		.amdhsa_user_sgpr_kernarg_segment_ptr 1
		.amdhsa_user_sgpr_dispatch_id 0
		.amdhsa_user_sgpr_flat_scratch_init 0
		.amdhsa_user_sgpr_kernarg_preload_length 0
		.amdhsa_user_sgpr_kernarg_preload_offset 0
		.amdhsa_user_sgpr_private_segment_size 0
		.amdhsa_uses_dynamic_stack 0
		.amdhsa_system_sgpr_private_segment_wavefront_offset 0
		.amdhsa_system_sgpr_workgroup_id_x 1
		.amdhsa_system_sgpr_workgroup_id_y 0
		.amdhsa_system_sgpr_workgroup_id_z 0
		.amdhsa_system_sgpr_workgroup_info 0
		.amdhsa_system_vgpr_workitem_id 0
		.amdhsa_next_free_vgpr 52
		.amdhsa_next_free_sgpr 39
		.amdhsa_accum_offset 52
		.amdhsa_reserve_vcc 1
		.amdhsa_reserve_flat_scratch 0
		.amdhsa_float_round_mode_32 0
		.amdhsa_float_round_mode_16_64 0
		.amdhsa_float_denorm_mode_32 3
		.amdhsa_float_denorm_mode_16_64 3
		.amdhsa_dx10_clamp 1
		.amdhsa_ieee_mode 1
		.amdhsa_fp16_overflow 0
		.amdhsa_tg_split 0
		.amdhsa_exception_fp_ieee_invalid_op 0
		.amdhsa_exception_fp_denorm_src 0
		.amdhsa_exception_fp_ieee_div_zero 0
		.amdhsa_exception_fp_ieee_overflow 0
		.amdhsa_exception_fp_ieee_underflow 0
		.amdhsa_exception_fp_ieee_inexact 0
		.amdhsa_exception_int_div_zero 0
	.end_amdhsa_kernel
	.section	.text._Z23fp32_router_gemm_kernelI14__hip_bfloat16Li128ELi30ELi256ELi3072EEvPfPKT_PKf,"axG",@progbits,_Z23fp32_router_gemm_kernelI14__hip_bfloat16Li128ELi30ELi256ELi3072EEvPfPKT_PKf,comdat
.Lfunc_end61:
	.size	_Z23fp32_router_gemm_kernelI14__hip_bfloat16Li128ELi30ELi256ELi3072EEvPfPKT_PKf, .Lfunc_end61-_Z23fp32_router_gemm_kernelI14__hip_bfloat16Li128ELi30ELi256ELi3072EEvPfPKT_PKf
                                        ; -- End function
	.section	.AMDGPU.csdata,"",@progbits
; Kernel info:
; codeLenInByte = 8728
; NumSgprs: 43
; NumVgprs: 52
; NumAgprs: 0
; TotalNumVgprs: 52
; ScratchSize: 0
; MemoryBound: 0
; FloatMode: 240
; IeeeMode: 1
; LDSByteSize: 480 bytes/workgroup (compile time only)
; SGPRBlocks: 5
; VGPRBlocks: 6
; NumSGPRsForWavesPerEU: 43
; NumVGPRsForWavesPerEU: 52
; AccumOffset: 52
; Occupancy: 8
; WaveLimiterHint : 1
; COMPUTE_PGM_RSRC2:SCRATCH_EN: 0
; COMPUTE_PGM_RSRC2:USER_SGPR: 6
; COMPUTE_PGM_RSRC2:TRAP_HANDLER: 0
; COMPUTE_PGM_RSRC2:TGID_X_EN: 1
; COMPUTE_PGM_RSRC2:TGID_Y_EN: 0
; COMPUTE_PGM_RSRC2:TGID_Z_EN: 0
; COMPUTE_PGM_RSRC2:TIDIG_COMP_CNT: 0
; COMPUTE_PGM_RSRC3_GFX90A:ACCUM_OFFSET: 12
; COMPUTE_PGM_RSRC3_GFX90A:TG_SPLIT: 0
	.section	.text._Z23fp32_router_gemm_kernelI14__hip_bfloat16Li128ELi31ELi256ELi3072EEvPfPKT_PKf,"axG",@progbits,_Z23fp32_router_gemm_kernelI14__hip_bfloat16Li128ELi31ELi256ELi3072EEvPfPKT_PKf,comdat
	.protected	_Z23fp32_router_gemm_kernelI14__hip_bfloat16Li128ELi31ELi256ELi3072EEvPfPKT_PKf ; -- Begin function _Z23fp32_router_gemm_kernelI14__hip_bfloat16Li128ELi31ELi256ELi3072EEvPfPKT_PKf
	.globl	_Z23fp32_router_gemm_kernelI14__hip_bfloat16Li128ELi31ELi256ELi3072EEvPfPKT_PKf
	.p2align	8
	.type	_Z23fp32_router_gemm_kernelI14__hip_bfloat16Li128ELi31ELi256ELi3072EEvPfPKT_PKf,@function
_Z23fp32_router_gemm_kernelI14__hip_bfloat16Li128ELi31ELi256ELi3072EEvPfPKT_PKf: ; @_Z23fp32_router_gemm_kernelI14__hip_bfloat16Li128ELi31ELi256ELi3072EEvPfPKT_PKf
; %bb.0:
	s_load_dwordx4 s[0:3], s[4:5], 0x0
	s_load_dwordx2 s[8:9], s[4:5], 0x10
	s_mul_i32 s4, s6, 0xc00
	s_ashr_i32 s5, s4, 31
	s_lshl_b64 s[4:5], s[4:5], 2
	v_lshlrev_b32_e32 v10, 3, v0
	s_waitcnt lgkmcnt(0)
	s_add_u32 s4, s8, s4
	v_or_b32_e32 v1, 0x400, v10
	v_or_b32_e32 v12, 0x800, v10
	s_addc_u32 s5, s9, s5
	s_mov_b64 s[8:9], 0
	v_mov_b32_e32 v41, 0
	v_mov_b32_e32 v42, s3
	s_movk_i32 s7, 0x1000
	s_movk_i32 s10, 0x3000
	;; [unrolled: 1-line block ×5, first 2 shown]
	s_mov_b32 s14, 0x9000
	s_mov_b32 s15, 0xa000
	;; [unrolled: 1-line block ×25, first 2 shown]
	v_mov_b32_e32 v43, 0
	v_mov_b32_e32 v40, 0
	;; [unrolled: 1-line block ×30, first 2 shown]
.LBB62_1:                               ; =>This Inner Loop Header: Depth=1
	s_cmp_eq_u32 s8, 1
	s_cselect_b64 vcc, -1, 0
	s_cmp_eq_u32 s8, 2
	v_cndmask_b32_e32 v2, v10, v1, vcc
	s_cselect_b64 vcc, -1, 0
	v_cndmask_b32_e32 v2, v2, v12, vcc
	v_lshlrev_b32_e32 v50, 2, v2
	v_lshlrev_b32_e32 v51, 1, v2
	global_load_dwordx4 v[2:5], v50, s[4:5] offset:16
	global_load_dwordx4 v[6:9], v50, s[4:5]
	global_load_dwordx4 v[46:49], v51, s[2:3]
	v_add_co_u32_e32 v44, vcc, s2, v51
	v_addc_co_u32_e32 v45, vcc, 0, v42, vcc
	s_add_u32 s8, s8, 1
	s_addc_u32 s9, s9, 0
	s_cmp_eq_u32 s8, 3
	s_waitcnt vmcnt(0)
	v_and_b32_e32 v51, 0xffff0000, v46
	v_lshlrev_b32_e32 v50, 16, v46
	v_pk_mul_f32 v[50:51], v[6:7], v[50:51]
	v_add_f32_e32 v41, v50, v41
	v_add_f32_e32 v41, v51, v41
	v_and_b32_e32 v51, 0xffff0000, v47
	v_lshlrev_b32_e32 v50, 16, v47
	v_pk_mul_f32 v[46:47], v[8:9], v[50:51]
	v_add_f32_e32 v41, v46, v41
	v_add_f32_e32 v41, v47, v41
	v_and_b32_e32 v47, 0xffff0000, v48
	v_lshlrev_b32_e32 v46, 16, v48
	v_pk_mul_f32 v[46:47], v[2:3], v[46:47]
	v_add_f32_e32 v41, v46, v41
	v_add_f32_e32 v41, v47, v41
	v_and_b32_e32 v47, 0xffff0000, v49
	v_lshlrev_b32_e32 v46, 16, v49
	v_pk_mul_f32 v[46:47], v[4:5], v[46:47]
	v_add_f32_e32 v41, v46, v41
	v_add_co_u32_e32 v46, vcc, s7, v44
	v_add_f32_e32 v41, v47, v41
	v_addc_co_u32_e32 v47, vcc, 0, v45, vcc
	global_load_dwordx4 v[46:49], v[46:47], off offset:2048
	s_waitcnt vmcnt(0)
	v_and_b32_e32 v51, 0xffff0000, v46
	v_lshlrev_b32_e32 v50, 16, v46
	v_pk_mul_f32 v[50:51], v[6:7], v[50:51]
	v_add_f32_e32 v43, v50, v43
	v_add_f32_e32 v43, v51, v43
	v_and_b32_e32 v51, 0xffff0000, v47
	v_lshlrev_b32_e32 v50, 16, v47
	v_pk_mul_f32 v[46:47], v[8:9], v[50:51]
	v_add_f32_e32 v43, v46, v43
	v_add_f32_e32 v43, v47, v43
	v_and_b32_e32 v47, 0xffff0000, v48
	v_lshlrev_b32_e32 v46, 16, v48
	v_pk_mul_f32 v[46:47], v[2:3], v[46:47]
	v_add_f32_e32 v43, v46, v43
	v_add_f32_e32 v43, v47, v43
	v_and_b32_e32 v47, 0xffff0000, v49
	v_lshlrev_b32_e32 v46, 16, v49
	v_pk_mul_f32 v[46:47], v[4:5], v[46:47]
	v_add_f32_e32 v43, v46, v43
	v_add_co_u32_e32 v46, vcc, s10, v44
	v_add_f32_e32 v43, v47, v43
	v_addc_co_u32_e32 v47, vcc, 0, v45, vcc
	global_load_dwordx4 v[46:49], v[46:47], off
	s_waitcnt vmcnt(0)
	v_and_b32_e32 v51, 0xffff0000, v46
	v_lshlrev_b32_e32 v50, 16, v46
	v_pk_mul_f32 v[50:51], v[6:7], v[50:51]
	v_add_f32_e32 v40, v50, v40
	v_add_f32_e32 v40, v51, v40
	v_and_b32_e32 v51, 0xffff0000, v47
	v_lshlrev_b32_e32 v50, 16, v47
	v_pk_mul_f32 v[46:47], v[8:9], v[50:51]
	v_add_f32_e32 v40, v46, v40
	v_add_f32_e32 v40, v47, v40
	v_and_b32_e32 v47, 0xffff0000, v48
	v_lshlrev_b32_e32 v46, 16, v48
	v_pk_mul_f32 v[46:47], v[2:3], v[46:47]
	v_add_f32_e32 v40, v46, v40
	v_add_f32_e32 v40, v47, v40
	v_and_b32_e32 v47, 0xffff0000, v49
	v_lshlrev_b32_e32 v46, 16, v49
	v_pk_mul_f32 v[46:47], v[4:5], v[46:47]
	v_add_f32_e32 v40, v46, v40
	v_add_co_u32_e32 v46, vcc, s11, v44
	v_add_f32_e32 v40, v47, v40
	v_addc_co_u32_e32 v47, vcc, 0, v45, vcc
	global_load_dwordx4 v[46:49], v[46:47], off offset:2048
	s_waitcnt vmcnt(0)
	v_and_b32_e32 v51, 0xffff0000, v46
	v_lshlrev_b32_e32 v50, 16, v46
	v_pk_mul_f32 v[50:51], v[6:7], v[50:51]
	v_add_f32_e32 v39, v50, v39
	v_add_f32_e32 v39, v51, v39
	v_and_b32_e32 v51, 0xffff0000, v47
	v_lshlrev_b32_e32 v50, 16, v47
	v_pk_mul_f32 v[46:47], v[8:9], v[50:51]
	v_add_f32_e32 v39, v46, v39
	v_add_f32_e32 v39, v47, v39
	v_and_b32_e32 v47, 0xffff0000, v48
	v_lshlrev_b32_e32 v46, 16, v48
	v_pk_mul_f32 v[46:47], v[2:3], v[46:47]
	v_add_f32_e32 v39, v46, v39
	v_add_f32_e32 v39, v47, v39
	v_and_b32_e32 v47, 0xffff0000, v49
	v_lshlrev_b32_e32 v46, 16, v49
	v_pk_mul_f32 v[46:47], v[4:5], v[46:47]
	v_add_f32_e32 v39, v46, v39
	v_add_co_u32_e32 v46, vcc, s12, v44
	v_add_f32_e32 v39, v47, v39
	v_addc_co_u32_e32 v47, vcc, 0, v45, vcc
	global_load_dwordx4 v[46:49], v[46:47], off
	;; [unrolled: 48-line block ×14, first 2 shown]
	s_waitcnt vmcnt(0)
	v_and_b32_e32 v51, 0xffff0000, v46
	v_lshlrev_b32_e32 v50, 16, v46
	v_pk_mul_f32 v[50:51], v[6:7], v[50:51]
	v_add_f32_e32 v13, v50, v13
	v_add_f32_e32 v13, v51, v13
	v_and_b32_e32 v51, 0xffff0000, v47
	v_lshlrev_b32_e32 v50, 16, v47
	v_pk_mul_f32 v[46:47], v[8:9], v[50:51]
	v_add_f32_e32 v13, v46, v13
	v_add_f32_e32 v13, v47, v13
	v_and_b32_e32 v47, 0xffff0000, v48
	v_lshlrev_b32_e32 v46, 16, v48
	v_pk_mul_f32 v[46:47], v[2:3], v[46:47]
	v_add_f32_e32 v13, v46, v13
	v_add_f32_e32 v13, v47, v13
	v_and_b32_e32 v47, 0xffff0000, v49
	v_lshlrev_b32_e32 v46, 16, v49
	v_pk_mul_f32 v[46:47], v[4:5], v[46:47]
	v_add_f32_e32 v13, v46, v13
	v_add_co_u32_e32 v46, vcc, s38, v44
	v_add_f32_e32 v13, v47, v13
	v_addc_co_u32_e32 v47, vcc, 0, v45, vcc
	global_load_dwordx4 v[46:49], v[46:47], off offset:2048
	v_add_co_u32_e32 v44, vcc, s39, v44
	v_addc_co_u32_e32 v45, vcc, 0, v45, vcc
	s_waitcnt vmcnt(0)
	v_and_b32_e32 v51, 0xffff0000, v46
	v_lshlrev_b32_e32 v50, 16, v46
	v_pk_mul_f32 v[50:51], v[6:7], v[50:51]
	v_add_f32_e32 v11, v50, v11
	v_add_f32_e32 v11, v51, v11
	v_and_b32_e32 v51, 0xffff0000, v47
	v_lshlrev_b32_e32 v50, 16, v47
	v_pk_mul_f32 v[46:47], v[8:9], v[50:51]
	v_add_f32_e32 v11, v46, v11
	v_add_f32_e32 v11, v47, v11
	;; [unrolled: 5-line block ×4, first 2 shown]
	global_load_dwordx4 v[44:47], v[44:45], off
	s_waitcnt vmcnt(0)
	v_and_b32_e32 v49, 0xffff0000, v44
	v_lshlrev_b32_e32 v48, 16, v44
	v_pk_mul_f32 v[6:7], v[6:7], v[48:49]
	v_add_f32_e32 v6, v6, v26
	v_add_f32_e32 v26, v7, v6
	v_and_b32_e32 v7, 0xffff0000, v45
	v_lshlrev_b32_e32 v6, 16, v45
	v_pk_mul_f32 v[6:7], v[8:9], v[6:7]
	v_add_f32_e32 v6, v6, v26
	v_add_f32_e32 v8, v7, v6
	;; [unrolled: 5-line block ×4, first 2 shown]
	s_cbranch_scc0 .LBB62_1
; %bb.2:
	v_mbcnt_lo_u32_b32 v1, -1, 0
	v_mbcnt_hi_u32_b32 v5, -1, v1
	v_and_b32_e32 v2, 64, v5
	v_xor_b32_e32 v1, 16, v5
	v_add_u32_e32 v6, 64, v2
	v_cmp_lt_i32_e32 vcc, v1, v6
	v_cndmask_b32_e32 v1, v5, v1, vcc
	v_lshlrev_b32_e32 v1, 2, v1
	ds_bpermute_b32 v3, v1, v41
	v_xor_b32_e32 v2, 8, v5
	v_cmp_lt_i32_e32 vcc, v2, v6
	v_cndmask_b32_e32 v2, v5, v2, vcc
	v_lshlrev_b32_e32 v2, 2, v2
	s_waitcnt lgkmcnt(0)
	v_add_f32_e32 v4, v41, v3
	ds_bpermute_b32 v7, v2, v4
	v_xor_b32_e32 v3, 4, v5
	v_cmp_lt_i32_e32 vcc, v3, v6
	v_cndmask_b32_e32 v3, v5, v3, vcc
	v_lshlrev_b32_e32 v3, 2, v3
	s_waitcnt lgkmcnt(0)
	v_add_f32_e32 v7, v4, v7
	ds_bpermute_b32 v8, v3, v7
	v_xor_b32_e32 v4, 2, v5
	v_cmp_lt_i32_e32 vcc, v4, v6
	v_cndmask_b32_e32 v4, v5, v4, vcc
	v_lshlrev_b32_e32 v4, 2, v4
	s_waitcnt lgkmcnt(0)
	v_add_f32_e32 v7, v7, v8
	ds_bpermute_b32 v8, v4, v7
	v_xor_b32_e32 v9, 1, v5
	v_cmp_lt_i32_e32 vcc, v9, v6
	v_cndmask_b32_e32 v5, v5, v9, vcc
	v_lshlrev_b32_e32 v6, 2, v5
	s_waitcnt lgkmcnt(0)
	v_add_f32_e32 v7, v7, v8
	ds_bpermute_b32 v8, v6, v7
	v_lshrrev_b32_e32 v5, 5, v0
	v_and_b32_e32 v9, 31, v0
	v_cmp_eq_u32_e32 vcc, 0, v9
	v_lshlrev_b32_e32 v5, 2, v5
	s_and_saveexec_b64 s[2:3], vcc
	s_cbranch_execz .LBB62_4
; %bb.3:
	s_waitcnt lgkmcnt(0)
	v_add_f32_e32 v7, v7, v8
	ds_write_b32 v5, v7
.LBB62_4:
	s_or_b64 exec, exec, s[2:3]
	ds_bpermute_b32 v7, v1, v43
	s_waitcnt lgkmcnt(0)
	v_add_f32_e32 v7, v43, v7
	ds_bpermute_b32 v8, v2, v7
	s_waitcnt lgkmcnt(0)
	v_add_f32_e32 v7, v7, v8
	ds_bpermute_b32 v8, v3, v7
	s_waitcnt lgkmcnt(0)
	v_add_f32_e32 v7, v7, v8
	ds_bpermute_b32 v8, v4, v7
	s_waitcnt lgkmcnt(0)
	v_add_f32_e32 v7, v7, v8
	ds_bpermute_b32 v8, v6, v7
	s_and_saveexec_b64 s[2:3], vcc
	s_cbranch_execz .LBB62_6
; %bb.5:
	s_waitcnt lgkmcnt(0)
	v_add_f32_e32 v7, v7, v8
	ds_write_b32 v5, v7 offset:16
.LBB62_6:
	s_or_b64 exec, exec, s[2:3]
	ds_bpermute_b32 v7, v1, v40
	s_waitcnt lgkmcnt(0)
	v_add_f32_e32 v7, v40, v7
	ds_bpermute_b32 v8, v2, v7
	s_waitcnt lgkmcnt(0)
	v_add_f32_e32 v7, v7, v8
	ds_bpermute_b32 v8, v3, v7
	s_waitcnt lgkmcnt(0)
	v_add_f32_e32 v7, v7, v8
	ds_bpermute_b32 v8, v4, v7
	s_waitcnt lgkmcnt(0)
	v_add_f32_e32 v7, v7, v8
	ds_bpermute_b32 v8, v6, v7
	s_and_saveexec_b64 s[2:3], vcc
	s_cbranch_execz .LBB62_8
; %bb.7:
	s_waitcnt lgkmcnt(0)
	v_add_f32_e32 v7, v7, v8
	ds_write_b32 v5, v7 offset:32
.LBB62_8:
	;; [unrolled: 21-line block ×30, first 2 shown]
	s_or_b64 exec, exec, s[2:3]
	v_cmp_eq_u32_e32 vcc, 0, v0
	s_waitcnt lgkmcnt(0)
	s_barrier
	s_and_saveexec_b64 s[2:3], vcc
	s_cbranch_execz .LBB62_66
; %bb.65:
	v_mov_b32_e32 v16, 0
	ds_read_b128 v[0:3], v16
	s_ashr_i32 s7, s6, 31
	ds_read_b128 v[4:7], v16 offset:16
	ds_read_b128 v[8:11], v16 offset:32
	;; [unrolled: 1-line block ×3, first 2 shown]
	s_lshl_b64 s[2:3], s[6:7], 2
	s_add_u32 s0, s0, s2
	s_waitcnt lgkmcnt(3)
	v_add_f32_e32 v0, 0, v0
	v_add_f32_e32 v0, v0, v1
	;; [unrolled: 1-line block ×4, first 2 shown]
	s_addc_u32 s1, s1, s3
	global_store_dword v16, v0, s[0:1]
	s_waitcnt lgkmcnt(2)
	v_add_f32_e32 v0, 0, v4
	v_add_f32_e32 v0, v0, v5
	;; [unrolled: 1-line block ×4, first 2 shown]
	global_store_dword v16, v0, s[0:1] offset:1024
	s_waitcnt lgkmcnt(1)
	v_add_f32_e32 v0, 0, v8
	v_add_f32_e32 v0, v0, v9
	;; [unrolled: 1-line block ×4, first 2 shown]
	global_store_dword v16, v0, s[0:1] offset:2048
	s_waitcnt lgkmcnt(0)
	v_add_f32_e32 v0, 0, v12
	v_add_f32_e32 v4, v0, v13
	ds_read_b128 v[0:3], v16 offset:64
	v_add_f32_e32 v4, v4, v14
	v_add_f32_e32 v4, v4, v15
	global_store_dword v16, v4, s[0:1] offset:3072
	ds_read_b128 v[4:7], v16 offset:80
	s_waitcnt lgkmcnt(1)
	v_add_f32_e32 v0, 0, v0
	v_add_f32_e32 v0, v0, v1
	;; [unrolled: 1-line block ×4, first 2 shown]
	v_mov_b32_e32 v8, 0x1000
	global_store_dword v8, v0, s[0:1]
	s_waitcnt lgkmcnt(0)
	v_add_f32_e32 v0, 0, v4
	v_add_f32_e32 v4, v0, v5
	ds_read_b128 v[0:3], v16 offset:96
	v_add_f32_e32 v4, v4, v6
	v_add_f32_e32 v4, v4, v7
	global_store_dword v8, v4, s[0:1] offset:1024
	ds_read_b128 v[4:7], v16 offset:112
	s_waitcnt lgkmcnt(1)
	v_add_f32_e32 v0, 0, v0
	v_add_f32_e32 v0, v0, v1
	;; [unrolled: 1-line block ×4, first 2 shown]
	global_store_dword v8, v0, s[0:1] offset:2048
	s_waitcnt lgkmcnt(0)
	v_add_f32_e32 v0, 0, v4
	v_add_f32_e32 v4, v0, v5
	ds_read_b128 v[0:3], v16 offset:128
	v_add_f32_e32 v4, v4, v6
	v_add_f32_e32 v4, v4, v7
	global_store_dword v8, v4, s[0:1] offset:3072
	ds_read_b128 v[4:7], v16 offset:144
	s_waitcnt lgkmcnt(1)
	v_add_f32_e32 v0, 0, v0
	v_add_f32_e32 v0, v0, v1
	;; [unrolled: 1-line block ×4, first 2 shown]
	v_mov_b32_e32 v12, 0x2000
	global_store_dword v12, v0, s[0:1]
	ds_read_b128 v[0:3], v16 offset:160
	ds_read_b128 v[8:11], v16 offset:176
	s_waitcnt lgkmcnt(2)
	v_add_f32_e32 v4, 0, v4
	v_add_f32_e32 v4, v4, v5
	;; [unrolled: 1-line block ×3, first 2 shown]
	s_waitcnt lgkmcnt(1)
	v_add_f32_e32 v0, 0, v0
	v_add_f32_e32 v0, v0, v1
	v_add_f32_e32 v0, v0, v2
	v_add_f32_e32 v0, v0, v3
	v_add_f32_e32 v4, v4, v7
	global_store_dword v12, v0, s[0:1] offset:2048
	s_waitcnt lgkmcnt(0)
	v_add_f32_e32 v0, 0, v8
	global_store_dword v12, v4, s[0:1] offset:1024
	v_add_f32_e32 v4, v0, v9
	ds_read_b128 v[0:3], v16 offset:192
	v_add_f32_e32 v4, v4, v10
	v_add_f32_e32 v4, v4, v11
	global_store_dword v12, v4, s[0:1] offset:3072
	ds_read_b128 v[4:7], v16 offset:208
	s_waitcnt lgkmcnt(1)
	v_add_f32_e32 v0, 0, v0
	v_add_f32_e32 v0, v0, v1
	;; [unrolled: 1-line block ×4, first 2 shown]
	v_mov_b32_e32 v8, 0x3000
	global_store_dword v8, v0, s[0:1]
	s_waitcnt lgkmcnt(0)
	v_add_f32_e32 v0, 0, v4
	v_add_f32_e32 v4, v0, v5
	ds_read_b128 v[0:3], v16 offset:224
	v_add_f32_e32 v4, v4, v6
	v_add_f32_e32 v4, v4, v7
	global_store_dword v8, v4, s[0:1] offset:1024
	ds_read_b128 v[4:7], v16 offset:240
	s_waitcnt lgkmcnt(1)
	v_add_f32_e32 v0, 0, v0
	v_add_f32_e32 v0, v0, v1
	;; [unrolled: 1-line block ×4, first 2 shown]
	global_store_dword v8, v0, s[0:1] offset:2048
	s_waitcnt lgkmcnt(0)
	v_add_f32_e32 v0, 0, v4
	v_add_f32_e32 v4, v0, v5
	ds_read_b128 v[0:3], v16 offset:256
	v_add_f32_e32 v4, v4, v6
	v_add_f32_e32 v4, v4, v7
	global_store_dword v8, v4, s[0:1] offset:3072
	ds_read_b128 v[4:7], v16 offset:272
	s_waitcnt lgkmcnt(1)
	v_add_f32_e32 v0, 0, v0
	v_add_f32_e32 v0, v0, v1
	v_add_f32_e32 v0, v0, v2
	v_add_f32_e32 v0, v0, v3
	v_mov_b32_e32 v12, 0x4000
	global_store_dword v12, v0, s[0:1]
	ds_read_b128 v[0:3], v16 offset:288
	ds_read_b128 v[8:11], v16 offset:304
	s_waitcnt lgkmcnt(2)
	v_add_f32_e32 v4, 0, v4
	v_add_f32_e32 v4, v4, v5
	;; [unrolled: 1-line block ×3, first 2 shown]
	s_waitcnt lgkmcnt(1)
	v_add_f32_e32 v0, 0, v0
	v_add_f32_e32 v0, v0, v1
	;; [unrolled: 1-line block ×5, first 2 shown]
	global_store_dword v12, v0, s[0:1] offset:2048
	s_waitcnt lgkmcnt(0)
	v_add_f32_e32 v0, 0, v8
	global_store_dword v12, v4, s[0:1] offset:1024
	v_add_f32_e32 v4, v0, v9
	ds_read_b128 v[0:3], v16 offset:320
	v_add_f32_e32 v4, v4, v10
	v_add_f32_e32 v4, v4, v11
	global_store_dword v12, v4, s[0:1] offset:3072
	ds_read_b128 v[4:7], v16 offset:336
	s_waitcnt lgkmcnt(1)
	v_add_f32_e32 v0, 0, v0
	v_add_f32_e32 v0, v0, v1
	;; [unrolled: 1-line block ×4, first 2 shown]
	v_mov_b32_e32 v8, 0x5000
	global_store_dword v8, v0, s[0:1]
	s_waitcnt lgkmcnt(0)
	v_add_f32_e32 v0, 0, v4
	v_add_f32_e32 v4, v0, v5
	ds_read_b128 v[0:3], v16 offset:352
	v_add_f32_e32 v4, v4, v6
	v_add_f32_e32 v4, v4, v7
	global_store_dword v8, v4, s[0:1] offset:1024
	ds_read_b128 v[4:7], v16 offset:368
	s_waitcnt lgkmcnt(1)
	v_add_f32_e32 v0, 0, v0
	v_add_f32_e32 v0, v0, v1
	v_add_f32_e32 v0, v0, v2
	v_add_f32_e32 v0, v0, v3
	global_store_dword v8, v0, s[0:1] offset:2048
	s_waitcnt lgkmcnt(0)
	v_add_f32_e32 v0, 0, v4
	v_add_f32_e32 v4, v0, v5
	ds_read_b128 v[0:3], v16 offset:384
	v_add_f32_e32 v4, v4, v6
	v_add_f32_e32 v4, v4, v7
	global_store_dword v8, v4, s[0:1] offset:3072
	ds_read_b128 v[4:7], v16 offset:400
	s_waitcnt lgkmcnt(1)
	v_add_f32_e32 v0, 0, v0
	v_add_f32_e32 v0, v0, v1
	;; [unrolled: 1-line block ×4, first 2 shown]
	v_mov_b32_e32 v17, 0x6000
	global_store_dword v17, v0, s[0:1]
	s_waitcnt lgkmcnt(0)
	v_add_f32_e32 v0, 0, v4
	v_add_f32_e32 v0, v0, v5
	;; [unrolled: 1-line block ×4, first 2 shown]
	ds_read_b128 v[0:3], v16 offset:416
	global_store_dword v17, v4, s[0:1] offset:1024
	ds_read_b128 v[4:7], v16 offset:432
	ds_read_b128 v[8:11], v16 offset:448
	;; [unrolled: 1-line block ×3, first 2 shown]
	s_waitcnt lgkmcnt(3)
	v_add_f32_e32 v0, 0, v0
	v_add_f32_e32 v0, v0, v1
	;; [unrolled: 1-line block ×4, first 2 shown]
	global_store_dword v17, v0, s[0:1] offset:2048
	s_waitcnt lgkmcnt(2)
	v_add_f32_e32 v0, 0, v4
	v_add_f32_e32 v0, v0, v5
	;; [unrolled: 1-line block ×4, first 2 shown]
	global_store_dword v17, v0, s[0:1] offset:3072
	s_waitcnt lgkmcnt(1)
	v_add_f32_e32 v0, 0, v8
	v_add_f32_e32 v0, v0, v9
	;; [unrolled: 1-line block ×4, first 2 shown]
	v_mov_b32_e32 v4, 0x7000
	global_store_dword v4, v0, s[0:1]
	ds_read_b128 v[0:3], v16 offset:480
	s_waitcnt lgkmcnt(1)
	v_add_f32_e32 v5, 0, v12
	v_add_f32_e32 v5, v5, v13
	;; [unrolled: 1-line block ×4, first 2 shown]
	s_waitcnt lgkmcnt(0)
	v_add_f32_e32 v0, 0, v0
	v_add_f32_e32 v0, v0, v1
	;; [unrolled: 1-line block ×4, first 2 shown]
	global_store_dword v4, v5, s[0:1] offset:1024
	global_store_dword v4, v0, s[0:1] offset:2048
.LBB62_66:
	s_endpgm
	.section	.rodata,"a",@progbits
	.p2align	6, 0x0
	.amdhsa_kernel _Z23fp32_router_gemm_kernelI14__hip_bfloat16Li128ELi31ELi256ELi3072EEvPfPKT_PKf
		.amdhsa_group_segment_fixed_size 496
		.amdhsa_private_segment_fixed_size 0
		.amdhsa_kernarg_size 24
		.amdhsa_user_sgpr_count 6
		.amdhsa_user_sgpr_private_segment_buffer 1
		.amdhsa_user_sgpr_dispatch_ptr 0
		.amdhsa_user_sgpr_queue_ptr 0
		.amdhsa_user_sgpr_kernarg_segment_ptr 1
		.amdhsa_user_sgpr_dispatch_id 0
		.amdhsa_user_sgpr_flat_scratch_init 0
		.amdhsa_user_sgpr_kernarg_preload_length 0
		.amdhsa_user_sgpr_kernarg_preload_offset 0
		.amdhsa_user_sgpr_private_segment_size 0
		.amdhsa_uses_dynamic_stack 0
		.amdhsa_system_sgpr_private_segment_wavefront_offset 0
		.amdhsa_system_sgpr_workgroup_id_x 1
		.amdhsa_system_sgpr_workgroup_id_y 0
		.amdhsa_system_sgpr_workgroup_id_z 0
		.amdhsa_system_sgpr_workgroup_info 0
		.amdhsa_system_vgpr_workitem_id 0
		.amdhsa_next_free_vgpr 52
		.amdhsa_next_free_sgpr 40
		.amdhsa_accum_offset 52
		.amdhsa_reserve_vcc 1
		.amdhsa_reserve_flat_scratch 0
		.amdhsa_float_round_mode_32 0
		.amdhsa_float_round_mode_16_64 0
		.amdhsa_float_denorm_mode_32 3
		.amdhsa_float_denorm_mode_16_64 3
		.amdhsa_dx10_clamp 1
		.amdhsa_ieee_mode 1
		.amdhsa_fp16_overflow 0
		.amdhsa_tg_split 0
		.amdhsa_exception_fp_ieee_invalid_op 0
		.amdhsa_exception_fp_denorm_src 0
		.amdhsa_exception_fp_ieee_div_zero 0
		.amdhsa_exception_fp_ieee_overflow 0
		.amdhsa_exception_fp_ieee_underflow 0
		.amdhsa_exception_fp_ieee_inexact 0
		.amdhsa_exception_int_div_zero 0
	.end_amdhsa_kernel
	.section	.text._Z23fp32_router_gemm_kernelI14__hip_bfloat16Li128ELi31ELi256ELi3072EEvPfPKT_PKf,"axG",@progbits,_Z23fp32_router_gemm_kernelI14__hip_bfloat16Li128ELi31ELi256ELi3072EEvPfPKT_PKf,comdat
.Lfunc_end62:
	.size	_Z23fp32_router_gemm_kernelI14__hip_bfloat16Li128ELi31ELi256ELi3072EEvPfPKT_PKf, .Lfunc_end62-_Z23fp32_router_gemm_kernelI14__hip_bfloat16Li128ELi31ELi256ELi3072EEvPfPKT_PKf
                                        ; -- End function
	.section	.AMDGPU.csdata,"",@progbits
; Kernel info:
; codeLenInByte = 9008
; NumSgprs: 44
; NumVgprs: 52
; NumAgprs: 0
; TotalNumVgprs: 52
; ScratchSize: 0
; MemoryBound: 0
; FloatMode: 240
; IeeeMode: 1
; LDSByteSize: 496 bytes/workgroup (compile time only)
; SGPRBlocks: 5
; VGPRBlocks: 6
; NumSGPRsForWavesPerEU: 44
; NumVGPRsForWavesPerEU: 52
; AccumOffset: 52
; Occupancy: 8
; WaveLimiterHint : 1
; COMPUTE_PGM_RSRC2:SCRATCH_EN: 0
; COMPUTE_PGM_RSRC2:USER_SGPR: 6
; COMPUTE_PGM_RSRC2:TRAP_HANDLER: 0
; COMPUTE_PGM_RSRC2:TGID_X_EN: 1
; COMPUTE_PGM_RSRC2:TGID_Y_EN: 0
; COMPUTE_PGM_RSRC2:TGID_Z_EN: 0
; COMPUTE_PGM_RSRC2:TIDIG_COMP_CNT: 0
; COMPUTE_PGM_RSRC3_GFX90A:ACCUM_OFFSET: 12
; COMPUTE_PGM_RSRC3_GFX90A:TG_SPLIT: 0
	.section	.text._Z23fp32_router_gemm_kernelI14__hip_bfloat16Li128ELi32ELi256ELi3072EEvPfPKT_PKf,"axG",@progbits,_Z23fp32_router_gemm_kernelI14__hip_bfloat16Li128ELi32ELi256ELi3072EEvPfPKT_PKf,comdat
	.protected	_Z23fp32_router_gemm_kernelI14__hip_bfloat16Li128ELi32ELi256ELi3072EEvPfPKT_PKf ; -- Begin function _Z23fp32_router_gemm_kernelI14__hip_bfloat16Li128ELi32ELi256ELi3072EEvPfPKT_PKf
	.globl	_Z23fp32_router_gemm_kernelI14__hip_bfloat16Li128ELi32ELi256ELi3072EEvPfPKT_PKf
	.p2align	8
	.type	_Z23fp32_router_gemm_kernelI14__hip_bfloat16Li128ELi32ELi256ELi3072EEvPfPKT_PKf,@function
_Z23fp32_router_gemm_kernelI14__hip_bfloat16Li128ELi32ELi256ELi3072EEvPfPKT_PKf: ; @_Z23fp32_router_gemm_kernelI14__hip_bfloat16Li128ELi32ELi256ELi3072EEvPfPKT_PKf
; %bb.0:
	s_load_dwordx4 s[0:3], s[4:5], 0x0
	s_load_dwordx2 s[8:9], s[4:5], 0x10
	s_mul_i32 s4, s6, 0xc00
	s_ashr_i32 s5, s4, 31
	s_lshl_b64 s[4:5], s[4:5], 2
	v_lshlrev_b32_e32 v10, 3, v0
	s_waitcnt lgkmcnt(0)
	s_add_u32 s4, s8, s4
	v_or_b32_e32 v1, 0x400, v10
	v_or_b32_e32 v12, 0x800, v10
	s_addc_u32 s5, s9, s5
	s_mov_b64 s[8:9], 0
	v_mov_b32_e32 v42, 0
	v_mov_b32_e32 v43, s3
	s_movk_i32 s7, 0x1000
	s_movk_i32 s10, 0x3000
	;; [unrolled: 1-line block ×5, first 2 shown]
	s_mov_b32 s14, 0x9000
	s_mov_b32 s15, 0xa000
	;; [unrolled: 1-line block ×26, first 2 shown]
	v_mov_b32_e32 v44, 0
	v_mov_b32_e32 v41, 0
	;; [unrolled: 1-line block ×31, first 2 shown]
.LBB63_1:                               ; =>This Inner Loop Header: Depth=1
	s_cmp_eq_u32 s8, 1
	s_cselect_b64 vcc, -1, 0
	s_cmp_eq_u32 s8, 2
	v_cndmask_b32_e32 v2, v10, v1, vcc
	s_cselect_b64 vcc, -1, 0
	v_cndmask_b32_e32 v2, v2, v12, vcc
	v_lshlrev_b32_e32 v47, 2, v2
	v_lshlrev_b32_e32 v52, 1, v2
	global_load_dwordx4 v[2:5], v47, s[4:5] offset:16
	global_load_dwordx4 v[6:9], v47, s[4:5]
	global_load_dwordx4 v[48:51], v52, s[2:3]
	v_add_co_u32_e32 v45, vcc, s2, v52
	v_addc_co_u32_e32 v46, vcc, 0, v43, vcc
	s_add_u32 s8, s8, 1
	s_addc_u32 s9, s9, 0
	s_cmp_eq_u32 s8, 3
	s_waitcnt vmcnt(0)
	v_and_b32_e32 v53, 0xffff0000, v48
	v_lshlrev_b32_e32 v52, 16, v48
	v_pk_mul_f32 v[52:53], v[6:7], v[52:53]
	v_add_f32_e32 v42, v52, v42
	v_add_f32_e32 v42, v53, v42
	v_and_b32_e32 v53, 0xffff0000, v49
	v_lshlrev_b32_e32 v52, 16, v49
	v_pk_mul_f32 v[48:49], v[8:9], v[52:53]
	v_add_f32_e32 v42, v48, v42
	v_add_f32_e32 v42, v49, v42
	v_and_b32_e32 v49, 0xffff0000, v50
	v_lshlrev_b32_e32 v48, 16, v50
	v_pk_mul_f32 v[48:49], v[2:3], v[48:49]
	v_add_f32_e32 v42, v48, v42
	v_add_f32_e32 v42, v49, v42
	v_and_b32_e32 v49, 0xffff0000, v51
	v_lshlrev_b32_e32 v48, 16, v51
	v_pk_mul_f32 v[48:49], v[4:5], v[48:49]
	v_add_f32_e32 v42, v48, v42
	v_add_co_u32_e32 v48, vcc, s7, v45
	v_add_f32_e32 v42, v49, v42
	v_addc_co_u32_e32 v49, vcc, 0, v46, vcc
	global_load_dwordx4 v[48:51], v[48:49], off offset:2048
	s_waitcnt vmcnt(0)
	v_and_b32_e32 v53, 0xffff0000, v48
	v_lshlrev_b32_e32 v52, 16, v48
	v_pk_mul_f32 v[52:53], v[6:7], v[52:53]
	v_add_f32_e32 v44, v52, v44
	v_add_f32_e32 v44, v53, v44
	v_and_b32_e32 v53, 0xffff0000, v49
	v_lshlrev_b32_e32 v52, 16, v49
	v_pk_mul_f32 v[48:49], v[8:9], v[52:53]
	v_add_f32_e32 v44, v48, v44
	v_add_f32_e32 v44, v49, v44
	v_and_b32_e32 v49, 0xffff0000, v50
	v_lshlrev_b32_e32 v48, 16, v50
	v_pk_mul_f32 v[48:49], v[2:3], v[48:49]
	v_add_f32_e32 v44, v48, v44
	v_add_f32_e32 v44, v49, v44
	v_and_b32_e32 v49, 0xffff0000, v51
	v_lshlrev_b32_e32 v48, 16, v51
	v_pk_mul_f32 v[48:49], v[4:5], v[48:49]
	v_add_f32_e32 v44, v48, v44
	v_add_co_u32_e32 v48, vcc, s10, v45
	v_add_f32_e32 v44, v49, v44
	v_addc_co_u32_e32 v49, vcc, 0, v46, vcc
	global_load_dwordx4 v[48:51], v[48:49], off
	s_waitcnt vmcnt(0)
	v_and_b32_e32 v53, 0xffff0000, v48
	v_lshlrev_b32_e32 v52, 16, v48
	v_pk_mul_f32 v[52:53], v[6:7], v[52:53]
	v_add_f32_e32 v41, v52, v41
	v_add_f32_e32 v41, v53, v41
	v_and_b32_e32 v53, 0xffff0000, v49
	v_lshlrev_b32_e32 v52, 16, v49
	v_pk_mul_f32 v[48:49], v[8:9], v[52:53]
	v_add_f32_e32 v41, v48, v41
	v_add_f32_e32 v41, v49, v41
	v_and_b32_e32 v49, 0xffff0000, v50
	v_lshlrev_b32_e32 v48, 16, v50
	v_pk_mul_f32 v[48:49], v[2:3], v[48:49]
	v_add_f32_e32 v41, v48, v41
	v_add_f32_e32 v41, v49, v41
	v_and_b32_e32 v49, 0xffff0000, v51
	v_lshlrev_b32_e32 v48, 16, v51
	v_pk_mul_f32 v[48:49], v[4:5], v[48:49]
	v_add_f32_e32 v41, v48, v41
	v_add_co_u32_e32 v48, vcc, s11, v45
	v_add_f32_e32 v41, v49, v41
	v_addc_co_u32_e32 v49, vcc, 0, v46, vcc
	global_load_dwordx4 v[48:51], v[48:49], off offset:2048
	s_waitcnt vmcnt(0)
	v_and_b32_e32 v53, 0xffff0000, v48
	v_lshlrev_b32_e32 v52, 16, v48
	v_pk_mul_f32 v[52:53], v[6:7], v[52:53]
	v_add_f32_e32 v40, v52, v40
	v_add_f32_e32 v40, v53, v40
	v_and_b32_e32 v53, 0xffff0000, v49
	v_lshlrev_b32_e32 v52, 16, v49
	v_pk_mul_f32 v[48:49], v[8:9], v[52:53]
	v_add_f32_e32 v40, v48, v40
	v_add_f32_e32 v40, v49, v40
	v_and_b32_e32 v49, 0xffff0000, v50
	v_lshlrev_b32_e32 v48, 16, v50
	v_pk_mul_f32 v[48:49], v[2:3], v[48:49]
	v_add_f32_e32 v40, v48, v40
	v_add_f32_e32 v40, v49, v40
	v_and_b32_e32 v49, 0xffff0000, v51
	v_lshlrev_b32_e32 v48, 16, v51
	v_pk_mul_f32 v[48:49], v[4:5], v[48:49]
	v_add_f32_e32 v40, v48, v40
	v_add_co_u32_e32 v48, vcc, s12, v45
	v_add_f32_e32 v40, v49, v40
	v_addc_co_u32_e32 v49, vcc, 0, v46, vcc
	global_load_dwordx4 v[48:51], v[48:49], off
	;; [unrolled: 48-line block ×15, first 2 shown]
	s_waitcnt vmcnt(0)
	v_and_b32_e32 v53, 0xffff0000, v48
	v_lshlrev_b32_e32 v52, 16, v48
	v_pk_mul_f32 v[52:53], v[6:7], v[52:53]
	v_add_f32_e32 v11, v52, v11
	v_add_f32_e32 v11, v53, v11
	v_and_b32_e32 v53, 0xffff0000, v49
	v_lshlrev_b32_e32 v52, 16, v49
	v_pk_mul_f32 v[48:49], v[8:9], v[52:53]
	v_add_f32_e32 v11, v48, v11
	v_add_f32_e32 v11, v49, v11
	;; [unrolled: 5-line block ×3, first 2 shown]
	v_and_b32_e32 v49, 0xffff0000, v51
	v_lshlrev_b32_e32 v48, 16, v51
	v_pk_mul_f32 v[48:49], v[4:5], v[48:49]
	v_add_f32_e32 v11, v48, v11
	v_add_co_u32_e32 v48, vcc, s40, v45
	v_add_f32_e32 v11, v49, v11
	v_addc_co_u32_e32 v49, vcc, 0, v46, vcc
	global_load_dwordx4 v[46:49], v[48:49], off offset:2048
	s_waitcnt vmcnt(0)
	v_and_b32_e32 v51, 0xffff0000, v46
	v_lshlrev_b32_e32 v50, 16, v46
	v_pk_mul_f32 v[6:7], v[6:7], v[50:51]
	v_add_f32_e32 v6, v6, v27
	v_add_f32_e32 v27, v7, v6
	v_and_b32_e32 v7, 0xffff0000, v47
	v_lshlrev_b32_e32 v6, 16, v47
	v_pk_mul_f32 v[6:7], v[8:9], v[6:7]
	v_add_f32_e32 v6, v6, v27
	v_add_f32_e32 v8, v7, v6
	;; [unrolled: 5-line block ×4, first 2 shown]
	s_cbranch_scc0 .LBB63_1
; %bb.2:
	v_mbcnt_lo_u32_b32 v1, -1, 0
	v_mbcnt_hi_u32_b32 v5, -1, v1
	v_and_b32_e32 v2, 64, v5
	v_xor_b32_e32 v1, 16, v5
	v_add_u32_e32 v6, 64, v2
	v_cmp_lt_i32_e32 vcc, v1, v6
	v_cndmask_b32_e32 v1, v5, v1, vcc
	v_lshlrev_b32_e32 v1, 2, v1
	ds_bpermute_b32 v3, v1, v42
	v_xor_b32_e32 v2, 8, v5
	v_cmp_lt_i32_e32 vcc, v2, v6
	v_cndmask_b32_e32 v2, v5, v2, vcc
	v_lshlrev_b32_e32 v2, 2, v2
	s_waitcnt lgkmcnt(0)
	v_add_f32_e32 v4, v42, v3
	ds_bpermute_b32 v7, v2, v4
	v_xor_b32_e32 v3, 4, v5
	v_cmp_lt_i32_e32 vcc, v3, v6
	v_cndmask_b32_e32 v3, v5, v3, vcc
	v_lshlrev_b32_e32 v3, 2, v3
	s_waitcnt lgkmcnt(0)
	v_add_f32_e32 v7, v4, v7
	;; [unrolled: 7-line block ×4, first 2 shown]
	ds_bpermute_b32 v8, v6, v7
	v_lshrrev_b32_e32 v5, 5, v0
	v_and_b32_e32 v9, 31, v0
	v_cmp_eq_u32_e32 vcc, 0, v9
	v_lshlrev_b32_e32 v5, 2, v5
	s_and_saveexec_b64 s[2:3], vcc
	s_cbranch_execz .LBB63_4
; %bb.3:
	s_waitcnt lgkmcnt(0)
	v_add_f32_e32 v7, v7, v8
	ds_write_b32 v5, v7
.LBB63_4:
	s_or_b64 exec, exec, s[2:3]
	ds_bpermute_b32 v7, v1, v44
	s_waitcnt lgkmcnt(0)
	v_add_f32_e32 v7, v44, v7
	ds_bpermute_b32 v8, v2, v7
	s_waitcnt lgkmcnt(0)
	v_add_f32_e32 v7, v7, v8
	ds_bpermute_b32 v8, v3, v7
	s_waitcnt lgkmcnt(0)
	v_add_f32_e32 v7, v7, v8
	ds_bpermute_b32 v8, v4, v7
	s_waitcnt lgkmcnt(0)
	v_add_f32_e32 v7, v7, v8
	ds_bpermute_b32 v8, v6, v7
	s_and_saveexec_b64 s[2:3], vcc
	s_cbranch_execz .LBB63_6
; %bb.5:
	s_waitcnt lgkmcnt(0)
	v_add_f32_e32 v7, v7, v8
	ds_write_b32 v5, v7 offset:16
.LBB63_6:
	s_or_b64 exec, exec, s[2:3]
	ds_bpermute_b32 v7, v1, v41
	s_waitcnt lgkmcnt(0)
	v_add_f32_e32 v7, v41, v7
	ds_bpermute_b32 v8, v2, v7
	s_waitcnt lgkmcnt(0)
	v_add_f32_e32 v7, v7, v8
	ds_bpermute_b32 v8, v3, v7
	s_waitcnt lgkmcnt(0)
	v_add_f32_e32 v7, v7, v8
	ds_bpermute_b32 v8, v4, v7
	s_waitcnt lgkmcnt(0)
	v_add_f32_e32 v7, v7, v8
	ds_bpermute_b32 v8, v6, v7
	s_and_saveexec_b64 s[2:3], vcc
	s_cbranch_execz .LBB63_8
; %bb.7:
	s_waitcnt lgkmcnt(0)
	v_add_f32_e32 v7, v7, v8
	ds_write_b32 v5, v7 offset:32
.LBB63_8:
	;; [unrolled: 21-line block ×31, first 2 shown]
	s_or_b64 exec, exec, s[2:3]
	v_cmp_eq_u32_e32 vcc, 0, v0
	s_waitcnt lgkmcnt(0)
	s_barrier
	s_and_saveexec_b64 s[2:3], vcc
	s_cbranch_execz .LBB63_68
; %bb.67:
	v_mov_b32_e32 v16, 0
	ds_read_b128 v[0:3], v16
	s_ashr_i32 s7, s6, 31
	ds_read_b128 v[4:7], v16 offset:16
	ds_read_b128 v[8:11], v16 offset:32
	;; [unrolled: 1-line block ×3, first 2 shown]
	s_lshl_b64 s[2:3], s[6:7], 2
	s_add_u32 s0, s0, s2
	s_waitcnt lgkmcnt(3)
	v_add_f32_e32 v0, 0, v0
	v_add_f32_e32 v0, v0, v1
	;; [unrolled: 1-line block ×4, first 2 shown]
	s_addc_u32 s1, s1, s3
	global_store_dword v16, v0, s[0:1]
	s_waitcnt lgkmcnt(2)
	v_add_f32_e32 v0, 0, v4
	v_add_f32_e32 v0, v0, v5
	;; [unrolled: 1-line block ×4, first 2 shown]
	global_store_dword v16, v0, s[0:1] offset:1024
	s_waitcnt lgkmcnt(1)
	v_add_f32_e32 v0, 0, v8
	v_add_f32_e32 v0, v0, v9
	;; [unrolled: 1-line block ×4, first 2 shown]
	global_store_dword v16, v0, s[0:1] offset:2048
	s_waitcnt lgkmcnt(0)
	v_add_f32_e32 v0, 0, v12
	v_add_f32_e32 v4, v0, v13
	ds_read_b128 v[0:3], v16 offset:64
	v_add_f32_e32 v4, v4, v14
	v_add_f32_e32 v4, v4, v15
	global_store_dword v16, v4, s[0:1] offset:3072
	ds_read_b128 v[4:7], v16 offset:80
	s_waitcnt lgkmcnt(1)
	v_add_f32_e32 v0, 0, v0
	v_add_f32_e32 v0, v0, v1
	;; [unrolled: 1-line block ×4, first 2 shown]
	v_mov_b32_e32 v8, 0x1000
	global_store_dword v8, v0, s[0:1]
	s_waitcnt lgkmcnt(0)
	v_add_f32_e32 v0, 0, v4
	v_add_f32_e32 v4, v0, v5
	ds_read_b128 v[0:3], v16 offset:96
	v_add_f32_e32 v4, v4, v6
	v_add_f32_e32 v4, v4, v7
	global_store_dword v8, v4, s[0:1] offset:1024
	ds_read_b128 v[4:7], v16 offset:112
	s_waitcnt lgkmcnt(1)
	v_add_f32_e32 v0, 0, v0
	v_add_f32_e32 v0, v0, v1
	;; [unrolled: 1-line block ×4, first 2 shown]
	global_store_dword v8, v0, s[0:1] offset:2048
	s_waitcnt lgkmcnt(0)
	v_add_f32_e32 v0, 0, v4
	v_add_f32_e32 v4, v0, v5
	ds_read_b128 v[0:3], v16 offset:128
	v_add_f32_e32 v4, v4, v6
	v_add_f32_e32 v4, v4, v7
	global_store_dword v8, v4, s[0:1] offset:3072
	ds_read_b128 v[4:7], v16 offset:144
	s_waitcnt lgkmcnt(1)
	v_add_f32_e32 v0, 0, v0
	v_add_f32_e32 v0, v0, v1
	;; [unrolled: 1-line block ×4, first 2 shown]
	v_mov_b32_e32 v12, 0x2000
	global_store_dword v12, v0, s[0:1]
	ds_read_b128 v[0:3], v16 offset:160
	ds_read_b128 v[8:11], v16 offset:176
	s_waitcnt lgkmcnt(2)
	v_add_f32_e32 v4, 0, v4
	v_add_f32_e32 v4, v4, v5
	v_add_f32_e32 v4, v4, v6
	s_waitcnt lgkmcnt(1)
	v_add_f32_e32 v0, 0, v0
	v_add_f32_e32 v0, v0, v1
	;; [unrolled: 1-line block ×5, first 2 shown]
	global_store_dword v12, v0, s[0:1] offset:2048
	s_waitcnt lgkmcnt(0)
	v_add_f32_e32 v0, 0, v8
	global_store_dword v12, v4, s[0:1] offset:1024
	v_add_f32_e32 v4, v0, v9
	ds_read_b128 v[0:3], v16 offset:192
	v_add_f32_e32 v4, v4, v10
	v_add_f32_e32 v4, v4, v11
	global_store_dword v12, v4, s[0:1] offset:3072
	ds_read_b128 v[4:7], v16 offset:208
	s_waitcnt lgkmcnt(1)
	v_add_f32_e32 v0, 0, v0
	v_add_f32_e32 v0, v0, v1
	;; [unrolled: 1-line block ×4, first 2 shown]
	v_mov_b32_e32 v8, 0x3000
	global_store_dword v8, v0, s[0:1]
	s_waitcnt lgkmcnt(0)
	v_add_f32_e32 v0, 0, v4
	v_add_f32_e32 v4, v0, v5
	ds_read_b128 v[0:3], v16 offset:224
	v_add_f32_e32 v4, v4, v6
	v_add_f32_e32 v4, v4, v7
	global_store_dword v8, v4, s[0:1] offset:1024
	ds_read_b128 v[4:7], v16 offset:240
	s_waitcnt lgkmcnt(1)
	v_add_f32_e32 v0, 0, v0
	v_add_f32_e32 v0, v0, v1
	;; [unrolled: 1-line block ×4, first 2 shown]
	global_store_dword v8, v0, s[0:1] offset:2048
	s_waitcnt lgkmcnt(0)
	v_add_f32_e32 v0, 0, v4
	v_add_f32_e32 v4, v0, v5
	ds_read_b128 v[0:3], v16 offset:256
	v_add_f32_e32 v4, v4, v6
	v_add_f32_e32 v4, v4, v7
	global_store_dword v8, v4, s[0:1] offset:3072
	ds_read_b128 v[4:7], v16 offset:272
	s_waitcnt lgkmcnt(1)
	v_add_f32_e32 v0, 0, v0
	v_add_f32_e32 v0, v0, v1
	;; [unrolled: 1-line block ×4, first 2 shown]
	v_mov_b32_e32 v12, 0x4000
	global_store_dword v12, v0, s[0:1]
	ds_read_b128 v[0:3], v16 offset:288
	ds_read_b128 v[8:11], v16 offset:304
	s_waitcnt lgkmcnt(2)
	v_add_f32_e32 v4, 0, v4
	v_add_f32_e32 v4, v4, v5
	v_add_f32_e32 v4, v4, v6
	s_waitcnt lgkmcnt(1)
	v_add_f32_e32 v0, 0, v0
	v_add_f32_e32 v0, v0, v1
	;; [unrolled: 1-line block ×5, first 2 shown]
	global_store_dword v12, v0, s[0:1] offset:2048
	s_waitcnt lgkmcnt(0)
	v_add_f32_e32 v0, 0, v8
	global_store_dword v12, v4, s[0:1] offset:1024
	v_add_f32_e32 v4, v0, v9
	ds_read_b128 v[0:3], v16 offset:320
	v_add_f32_e32 v4, v4, v10
	v_add_f32_e32 v4, v4, v11
	global_store_dword v12, v4, s[0:1] offset:3072
	ds_read_b128 v[4:7], v16 offset:336
	s_waitcnt lgkmcnt(1)
	v_add_f32_e32 v0, 0, v0
	v_add_f32_e32 v0, v0, v1
	;; [unrolled: 1-line block ×4, first 2 shown]
	v_mov_b32_e32 v8, 0x5000
	global_store_dword v8, v0, s[0:1]
	s_waitcnt lgkmcnt(0)
	v_add_f32_e32 v0, 0, v4
	v_add_f32_e32 v4, v0, v5
	ds_read_b128 v[0:3], v16 offset:352
	v_add_f32_e32 v4, v4, v6
	v_add_f32_e32 v4, v4, v7
	global_store_dword v8, v4, s[0:1] offset:1024
	ds_read_b128 v[4:7], v16 offset:368
	s_waitcnt lgkmcnt(1)
	v_add_f32_e32 v0, 0, v0
	v_add_f32_e32 v0, v0, v1
	;; [unrolled: 1-line block ×4, first 2 shown]
	global_store_dword v8, v0, s[0:1] offset:2048
	s_waitcnt lgkmcnt(0)
	v_add_f32_e32 v0, 0, v4
	v_add_f32_e32 v4, v0, v5
	ds_read_b128 v[0:3], v16 offset:384
	v_add_f32_e32 v4, v4, v6
	v_add_f32_e32 v4, v4, v7
	global_store_dword v8, v4, s[0:1] offset:3072
	ds_read_b128 v[4:7], v16 offset:400
	s_waitcnt lgkmcnt(1)
	v_add_f32_e32 v0, 0, v0
	v_add_f32_e32 v0, v0, v1
	;; [unrolled: 1-line block ×4, first 2 shown]
	v_mov_b32_e32 v17, 0x6000
	global_store_dword v17, v0, s[0:1]
	s_waitcnt lgkmcnt(0)
	v_add_f32_e32 v0, 0, v4
	v_add_f32_e32 v0, v0, v5
	v_add_f32_e32 v0, v0, v6
	v_add_f32_e32 v4, v0, v7
	ds_read_b128 v[0:3], v16 offset:416
	global_store_dword v17, v4, s[0:1] offset:1024
	ds_read_b128 v[4:7], v16 offset:432
	ds_read_b128 v[8:11], v16 offset:448
	;; [unrolled: 1-line block ×3, first 2 shown]
	s_waitcnt lgkmcnt(3)
	v_add_f32_e32 v0, 0, v0
	v_add_f32_e32 v0, v0, v1
	;; [unrolled: 1-line block ×4, first 2 shown]
	global_store_dword v17, v0, s[0:1] offset:2048
	s_waitcnt lgkmcnt(2)
	v_add_f32_e32 v0, 0, v4
	v_add_f32_e32 v0, v0, v5
	;; [unrolled: 1-line block ×4, first 2 shown]
	global_store_dword v17, v0, s[0:1] offset:3072
	s_waitcnt lgkmcnt(1)
	v_add_f32_e32 v0, 0, v8
	v_add_f32_e32 v0, v0, v9
	;; [unrolled: 1-line block ×4, first 2 shown]
	v_mov_b32_e32 v8, 0x7000
	global_store_dword v8, v0, s[0:1]
	s_waitcnt lgkmcnt(0)
	v_add_f32_e32 v0, 0, v12
	v_add_f32_e32 v4, v0, v13
	ds_read_b128 v[0:3], v16 offset:480
	v_add_f32_e32 v4, v4, v14
	v_add_f32_e32 v4, v4, v15
	global_store_dword v8, v4, s[0:1] offset:1024
	ds_read_b128 v[4:7], v16 offset:496
	s_waitcnt lgkmcnt(1)
	v_add_f32_e32 v0, 0, v0
	v_add_f32_e32 v0, v0, v1
	v_add_f32_e32 v0, v0, v2
	v_add_f32_e32 v0, v0, v3
	global_store_dword v8, v0, s[0:1] offset:2048
	s_waitcnt lgkmcnt(0)
	v_add_f32_e32 v0, 0, v4
	v_add_f32_e32 v0, v0, v5
	;; [unrolled: 1-line block ×4, first 2 shown]
	global_store_dword v8, v0, s[0:1] offset:3072
.LBB63_68:
	s_endpgm
	.section	.rodata,"a",@progbits
	.p2align	6, 0x0
	.amdhsa_kernel _Z23fp32_router_gemm_kernelI14__hip_bfloat16Li128ELi32ELi256ELi3072EEvPfPKT_PKf
		.amdhsa_group_segment_fixed_size 512
		.amdhsa_private_segment_fixed_size 0
		.amdhsa_kernarg_size 24
		.amdhsa_user_sgpr_count 6
		.amdhsa_user_sgpr_private_segment_buffer 1
		.amdhsa_user_sgpr_dispatch_ptr 0
		.amdhsa_user_sgpr_queue_ptr 0
		.amdhsa_user_sgpr_kernarg_segment_ptr 1
		.amdhsa_user_sgpr_dispatch_id 0
		.amdhsa_user_sgpr_flat_scratch_init 0
		.amdhsa_user_sgpr_kernarg_preload_length 0
		.amdhsa_user_sgpr_kernarg_preload_offset 0
		.amdhsa_user_sgpr_private_segment_size 0
		.amdhsa_uses_dynamic_stack 0
		.amdhsa_system_sgpr_private_segment_wavefront_offset 0
		.amdhsa_system_sgpr_workgroup_id_x 1
		.amdhsa_system_sgpr_workgroup_id_y 0
		.amdhsa_system_sgpr_workgroup_id_z 0
		.amdhsa_system_sgpr_workgroup_info 0
		.amdhsa_system_vgpr_workitem_id 0
		.amdhsa_next_free_vgpr 54
		.amdhsa_next_free_sgpr 41
		.amdhsa_accum_offset 56
		.amdhsa_reserve_vcc 1
		.amdhsa_reserve_flat_scratch 0
		.amdhsa_float_round_mode_32 0
		.amdhsa_float_round_mode_16_64 0
		.amdhsa_float_denorm_mode_32 3
		.amdhsa_float_denorm_mode_16_64 3
		.amdhsa_dx10_clamp 1
		.amdhsa_ieee_mode 1
		.amdhsa_fp16_overflow 0
		.amdhsa_tg_split 0
		.amdhsa_exception_fp_ieee_invalid_op 0
		.amdhsa_exception_fp_denorm_src 0
		.amdhsa_exception_fp_ieee_div_zero 0
		.amdhsa_exception_fp_ieee_overflow 0
		.amdhsa_exception_fp_ieee_underflow 0
		.amdhsa_exception_fp_ieee_inexact 0
		.amdhsa_exception_int_div_zero 0
	.end_amdhsa_kernel
	.section	.text._Z23fp32_router_gemm_kernelI14__hip_bfloat16Li128ELi32ELi256ELi3072EEvPfPKT_PKf,"axG",@progbits,_Z23fp32_router_gemm_kernelI14__hip_bfloat16Li128ELi32ELi256ELi3072EEvPfPKT_PKf,comdat
.Lfunc_end63:
	.size	_Z23fp32_router_gemm_kernelI14__hip_bfloat16Li128ELi32ELi256ELi3072EEvPfPKT_PKf, .Lfunc_end63-_Z23fp32_router_gemm_kernelI14__hip_bfloat16Li128ELi32ELi256ELi3072EEvPfPKT_PKf
                                        ; -- End function
	.section	.AMDGPU.csdata,"",@progbits
; Kernel info:
; codeLenInByte = 9288
; NumSgprs: 45
; NumVgprs: 54
; NumAgprs: 0
; TotalNumVgprs: 54
; ScratchSize: 0
; MemoryBound: 0
; FloatMode: 240
; IeeeMode: 1
; LDSByteSize: 512 bytes/workgroup (compile time only)
; SGPRBlocks: 5
; VGPRBlocks: 6
; NumSGPRsForWavesPerEU: 45
; NumVGPRsForWavesPerEU: 54
; AccumOffset: 56
; Occupancy: 8
; WaveLimiterHint : 1
; COMPUTE_PGM_RSRC2:SCRATCH_EN: 0
; COMPUTE_PGM_RSRC2:USER_SGPR: 6
; COMPUTE_PGM_RSRC2:TRAP_HANDLER: 0
; COMPUTE_PGM_RSRC2:TGID_X_EN: 1
; COMPUTE_PGM_RSRC2:TGID_Y_EN: 0
; COMPUTE_PGM_RSRC2:TGID_Z_EN: 0
; COMPUTE_PGM_RSRC2:TIDIG_COMP_CNT: 0
; COMPUTE_PGM_RSRC3_GFX90A:ACCUM_OFFSET: 13
; COMPUTE_PGM_RSRC3_GFX90A:TG_SPLIT: 0
	.text
	.p2alignl 6, 3212836864
	.fill 256, 4, 3212836864
	.type	__hip_cuid_73a71a7bc30e271d,@object ; @__hip_cuid_73a71a7bc30e271d
	.section	.bss,"aw",@nobits
	.globl	__hip_cuid_73a71a7bc30e271d
__hip_cuid_73a71a7bc30e271d:
	.byte	0                               ; 0x0
	.size	__hip_cuid_73a71a7bc30e271d, 1

	.ident	"AMD clang version 19.0.0git (https://github.com/RadeonOpenCompute/llvm-project roc-6.4.0 25133 c7fe45cf4b819c5991fe208aaa96edf142730f1d)"
	.section	".note.GNU-stack","",@progbits
	.addrsig
	.addrsig_sym __hip_cuid_73a71a7bc30e271d
	.amdgpu_metadata
---
amdhsa.kernels:
  - .agpr_count:     0
    .args:
      - .address_space:  global
        .offset:         0
        .size:           8
        .value_kind:     global_buffer
      - .address_space:  global
        .offset:         8
        .size:           8
        .value_kind:     global_buffer
      - .address_space:  global
        .offset:         16
        .size:           8
        .value_kind:     global_buffer
    .group_segment_fixed_size: 16
    .kernarg_segment_align: 8
    .kernarg_segment_size: 24
    .language:       OpenCL C
    .language_version:
      - 2
      - 0
    .max_flat_workgroup_size: 128
    .name:           _Z23fp32_router_gemm_kernelIfLi128ELi1ELi256ELi3072EEvPfPKT_PKf
    .private_segment_fixed_size: 0
    .sgpr_count:     14
    .sgpr_spill_count: 0
    .symbol:         _Z23fp32_router_gemm_kernelIfLi128ELi1ELi256ELi3072EEvPfPKT_PKf.kd
    .uniform_work_group_size: 1
    .uses_dynamic_stack: false
    .vgpr_count:     58
    .vgpr_spill_count: 0
    .wavefront_size: 64
  - .agpr_count:     0
    .args:
      - .address_space:  global
        .offset:         0
        .size:           8
        .value_kind:     global_buffer
      - .address_space:  global
        .offset:         8
        .size:           8
        .value_kind:     global_buffer
      - .address_space:  global
        .offset:         16
        .size:           8
        .value_kind:     global_buffer
    .group_segment_fixed_size: 32
    .kernarg_segment_align: 8
    .kernarg_segment_size: 24
    .language:       OpenCL C
    .language_version:
      - 2
      - 0
    .max_flat_workgroup_size: 128
    .name:           _Z23fp32_router_gemm_kernelIfLi128ELi2ELi256ELi3072EEvPfPKT_PKf
    .private_segment_fixed_size: 0
    .sgpr_count:     14
    .sgpr_spill_count: 0
    .symbol:         _Z23fp32_router_gemm_kernelIfLi128ELi2ELi256ELi3072EEvPfPKT_PKf.kd
    .uniform_work_group_size: 1
    .uses_dynamic_stack: false
    .vgpr_count:     63
    .vgpr_spill_count: 0
    .wavefront_size: 64
  - .agpr_count:     0
    .args:
      - .address_space:  global
        .offset:         0
        .size:           8
        .value_kind:     global_buffer
      - .address_space:  global
        .offset:         8
        .size:           8
        .value_kind:     global_buffer
      - .address_space:  global
        .offset:         16
        .size:           8
        .value_kind:     global_buffer
    .group_segment_fixed_size: 48
    .kernarg_segment_align: 8
    .kernarg_segment_size: 24
    .language:       OpenCL C
    .language_version:
      - 2
      - 0
    .max_flat_workgroup_size: 128
    .name:           _Z23fp32_router_gemm_kernelIfLi128ELi3ELi256ELi3072EEvPfPKT_PKf
    .private_segment_fixed_size: 0
    .sgpr_count:     19
    .sgpr_spill_count: 0
    .symbol:         _Z23fp32_router_gemm_kernelIfLi128ELi3ELi256ELi3072EEvPfPKT_PKf.kd
    .uniform_work_group_size: 1
    .uses_dynamic_stack: false
    .vgpr_count:     97
    .vgpr_spill_count: 0
    .wavefront_size: 64
  - .agpr_count:     0
    .args:
      - .address_space:  global
        .offset:         0
        .size:           8
        .value_kind:     global_buffer
      - .address_space:  global
        .offset:         8
        .size:           8
        .value_kind:     global_buffer
      - .address_space:  global
        .offset:         16
        .size:           8
        .value_kind:     global_buffer
    .group_segment_fixed_size: 64
    .kernarg_segment_align: 8
    .kernarg_segment_size: 24
    .language:       OpenCL C
    .language_version:
      - 2
      - 0
    .max_flat_workgroup_size: 128
    .name:           _Z23fp32_router_gemm_kernelIfLi128ELi4ELi256ELi3072EEvPfPKT_PKf
    .private_segment_fixed_size: 0
    .sgpr_count:     14
    .sgpr_spill_count: 0
    .symbol:         _Z23fp32_router_gemm_kernelIfLi128ELi4ELi256ELi3072EEvPfPKT_PKf.kd
    .uniform_work_group_size: 1
    .uses_dynamic_stack: false
    .vgpr_count:     128
    .vgpr_spill_count: 0
    .wavefront_size: 64
  - .agpr_count:     0
    .args:
      - .address_space:  global
        .offset:         0
        .size:           8
        .value_kind:     global_buffer
      - .address_space:  global
        .offset:         8
        .size:           8
        .value_kind:     global_buffer
      - .address_space:  global
        .offset:         16
        .size:           8
        .value_kind:     global_buffer
    .group_segment_fixed_size: 80
    .kernarg_segment_align: 8
    .kernarg_segment_size: 24
    .language:       OpenCL C
    .language_version:
      - 2
      - 0
    .max_flat_workgroup_size: 128
    .name:           _Z23fp32_router_gemm_kernelIfLi128ELi5ELi256ELi3072EEvPfPKT_PKf
    .private_segment_fixed_size: 0
    .sgpr_count:     16
    .sgpr_spill_count: 0
    .symbol:         _Z23fp32_router_gemm_kernelIfLi128ELi5ELi256ELi3072EEvPfPKT_PKf.kd
    .uniform_work_group_size: 1
    .uses_dynamic_stack: false
    .vgpr_count:     148
    .vgpr_spill_count: 0
    .wavefront_size: 64
  - .agpr_count:     0
    .args:
      - .address_space:  global
        .offset:         0
        .size:           8
        .value_kind:     global_buffer
      - .address_space:  global
        .offset:         8
        .size:           8
        .value_kind:     global_buffer
      - .address_space:  global
        .offset:         16
        .size:           8
        .value_kind:     global_buffer
    .group_segment_fixed_size: 96
    .kernarg_segment_align: 8
    .kernarg_segment_size: 24
    .language:       OpenCL C
    .language_version:
      - 2
      - 0
    .max_flat_workgroup_size: 128
    .name:           _Z23fp32_router_gemm_kernelIfLi128ELi6ELi256ELi3072EEvPfPKT_PKf
    .private_segment_fixed_size: 0
    .sgpr_count:     22
    .sgpr_spill_count: 0
    .symbol:         _Z23fp32_router_gemm_kernelIfLi128ELi6ELi256ELi3072EEvPfPKT_PKf.kd
    .uniform_work_group_size: 1
    .uses_dynamic_stack: false
    .vgpr_count:     165
    .vgpr_spill_count: 0
    .wavefront_size: 64
  - .agpr_count:     0
    .args:
      - .address_space:  global
        .offset:         0
        .size:           8
        .value_kind:     global_buffer
      - .address_space:  global
        .offset:         8
        .size:           8
        .value_kind:     global_buffer
      - .address_space:  global
        .offset:         16
        .size:           8
        .value_kind:     global_buffer
    .group_segment_fixed_size: 112
    .kernarg_segment_align: 8
    .kernarg_segment_size: 24
    .language:       OpenCL C
    .language_version:
      - 2
      - 0
    .max_flat_workgroup_size: 128
    .name:           _Z23fp32_router_gemm_kernelIfLi128ELi7ELi256ELi3072EEvPfPKT_PKf
    .private_segment_fixed_size: 0
    .sgpr_count:     16
    .sgpr_spill_count: 0
    .symbol:         _Z23fp32_router_gemm_kernelIfLi128ELi7ELi256ELi3072EEvPfPKT_PKf.kd
    .uniform_work_group_size: 1
    .uses_dynamic_stack: false
    .vgpr_count:     196
    .vgpr_spill_count: 0
    .wavefront_size: 64
  - .agpr_count:     0
    .args:
      - .address_space:  global
        .offset:         0
        .size:           8
        .value_kind:     global_buffer
      - .address_space:  global
        .offset:         8
        .size:           8
        .value_kind:     global_buffer
      - .address_space:  global
        .offset:         16
        .size:           8
        .value_kind:     global_buffer
    .group_segment_fixed_size: 128
    .kernarg_segment_align: 8
    .kernarg_segment_size: 24
    .language:       OpenCL C
    .language_version:
      - 2
      - 0
    .max_flat_workgroup_size: 128
    .name:           _Z23fp32_router_gemm_kernelIfLi128ELi8ELi256ELi3072EEvPfPKT_PKf
    .private_segment_fixed_size: 0
    .sgpr_count:     16
    .sgpr_spill_count: 0
    .symbol:         _Z23fp32_router_gemm_kernelIfLi128ELi8ELi256ELi3072EEvPfPKT_PKf.kd
    .uniform_work_group_size: 1
    .uses_dynamic_stack: false
    .vgpr_count:     220
    .vgpr_spill_count: 0
    .wavefront_size: 64
  - .agpr_count:     0
    .args:
      - .address_space:  global
        .offset:         0
        .size:           8
        .value_kind:     global_buffer
      - .address_space:  global
        .offset:         8
        .size:           8
        .value_kind:     global_buffer
      - .address_space:  global
        .offset:         16
        .size:           8
        .value_kind:     global_buffer
    .group_segment_fixed_size: 144
    .kernarg_segment_align: 8
    .kernarg_segment_size: 24
    .language:       OpenCL C
    .language_version:
      - 2
      - 0
    .max_flat_workgroup_size: 128
    .name:           _Z23fp32_router_gemm_kernelIfLi128ELi9ELi256ELi3072EEvPfPKT_PKf
    .private_segment_fixed_size: 0
    .sgpr_count:     21
    .sgpr_spill_count: 0
    .symbol:         _Z23fp32_router_gemm_kernelIfLi128ELi9ELi256ELi3072EEvPfPKT_PKf.kd
    .uniform_work_group_size: 1
    .uses_dynamic_stack: false
    .vgpr_count:     35
    .vgpr_spill_count: 0
    .wavefront_size: 64
  - .agpr_count:     0
    .args:
      - .address_space:  global
        .offset:         0
        .size:           8
        .value_kind:     global_buffer
      - .address_space:  global
        .offset:         8
        .size:           8
        .value_kind:     global_buffer
      - .address_space:  global
        .offset:         16
        .size:           8
        .value_kind:     global_buffer
    .group_segment_fixed_size: 160
    .kernarg_segment_align: 8
    .kernarg_segment_size: 24
    .language:       OpenCL C
    .language_version:
      - 2
      - 0
    .max_flat_workgroup_size: 128
    .name:           _Z23fp32_router_gemm_kernelIfLi128ELi10ELi256ELi3072EEvPfPKT_PKf
    .private_segment_fixed_size: 0
    .sgpr_count:     22
    .sgpr_spill_count: 0
    .symbol:         _Z23fp32_router_gemm_kernelIfLi128ELi10ELi256ELi3072EEvPfPKT_PKf.kd
    .uniform_work_group_size: 1
    .uses_dynamic_stack: false
    .vgpr_count:     36
    .vgpr_spill_count: 0
    .wavefront_size: 64
  - .agpr_count:     0
    .args:
      - .address_space:  global
        .offset:         0
        .size:           8
        .value_kind:     global_buffer
      - .address_space:  global
        .offset:         8
        .size:           8
        .value_kind:     global_buffer
      - .address_space:  global
        .offset:         16
        .size:           8
        .value_kind:     global_buffer
    .group_segment_fixed_size: 176
    .kernarg_segment_align: 8
    .kernarg_segment_size: 24
    .language:       OpenCL C
    .language_version:
      - 2
      - 0
    .max_flat_workgroup_size: 128
    .name:           _Z23fp32_router_gemm_kernelIfLi128ELi11ELi256ELi3072EEvPfPKT_PKf
    .private_segment_fixed_size: 0
    .sgpr_count:     23
    .sgpr_spill_count: 0
    .symbol:         _Z23fp32_router_gemm_kernelIfLi128ELi11ELi256ELi3072EEvPfPKT_PKf.kd
    .uniform_work_group_size: 1
    .uses_dynamic_stack: false
    .vgpr_count:     37
    .vgpr_spill_count: 0
    .wavefront_size: 64
  - .agpr_count:     0
    .args:
      - .address_space:  global
        .offset:         0
        .size:           8
        .value_kind:     global_buffer
      - .address_space:  global
        .offset:         8
        .size:           8
        .value_kind:     global_buffer
      - .address_space:  global
        .offset:         16
        .size:           8
        .value_kind:     global_buffer
    .group_segment_fixed_size: 192
    .kernarg_segment_align: 8
    .kernarg_segment_size: 24
    .language:       OpenCL C
    .language_version:
      - 2
      - 0
    .max_flat_workgroup_size: 128
    .name:           _Z23fp32_router_gemm_kernelIfLi128ELi12ELi256ELi3072EEvPfPKT_PKf
    .private_segment_fixed_size: 0
    .sgpr_count:     24
    .sgpr_spill_count: 0
    .symbol:         _Z23fp32_router_gemm_kernelIfLi128ELi12ELi256ELi3072EEvPfPKT_PKf.kd
    .uniform_work_group_size: 1
    .uses_dynamic_stack: false
    .vgpr_count:     38
    .vgpr_spill_count: 0
    .wavefront_size: 64
  - .agpr_count:     0
    .args:
      - .address_space:  global
        .offset:         0
        .size:           8
        .value_kind:     global_buffer
      - .address_space:  global
        .offset:         8
        .size:           8
        .value_kind:     global_buffer
      - .address_space:  global
        .offset:         16
        .size:           8
        .value_kind:     global_buffer
    .group_segment_fixed_size: 208
    .kernarg_segment_align: 8
    .kernarg_segment_size: 24
    .language:       OpenCL C
    .language_version:
      - 2
      - 0
    .max_flat_workgroup_size: 128
    .name:           _Z23fp32_router_gemm_kernelIfLi128ELi13ELi256ELi3072EEvPfPKT_PKf
    .private_segment_fixed_size: 0
    .sgpr_count:     25
    .sgpr_spill_count: 0
    .symbol:         _Z23fp32_router_gemm_kernelIfLi128ELi13ELi256ELi3072EEvPfPKT_PKf.kd
    .uniform_work_group_size: 1
    .uses_dynamic_stack: false
    .vgpr_count:     39
    .vgpr_spill_count: 0
    .wavefront_size: 64
  - .agpr_count:     0
    .args:
      - .address_space:  global
        .offset:         0
        .size:           8
        .value_kind:     global_buffer
      - .address_space:  global
        .offset:         8
        .size:           8
        .value_kind:     global_buffer
      - .address_space:  global
        .offset:         16
        .size:           8
        .value_kind:     global_buffer
    .group_segment_fixed_size: 224
    .kernarg_segment_align: 8
    .kernarg_segment_size: 24
    .language:       OpenCL C
    .language_version:
      - 2
      - 0
    .max_flat_workgroup_size: 128
    .name:           _Z23fp32_router_gemm_kernelIfLi128ELi14ELi256ELi3072EEvPfPKT_PKf
    .private_segment_fixed_size: 0
    .sgpr_count:     26
    .sgpr_spill_count: 0
    .symbol:         _Z23fp32_router_gemm_kernelIfLi128ELi14ELi256ELi3072EEvPfPKT_PKf.kd
    .uniform_work_group_size: 1
    .uses_dynamic_stack: false
    .vgpr_count:     40
    .vgpr_spill_count: 0
    .wavefront_size: 64
  - .agpr_count:     0
    .args:
      - .address_space:  global
        .offset:         0
        .size:           8
        .value_kind:     global_buffer
      - .address_space:  global
        .offset:         8
        .size:           8
        .value_kind:     global_buffer
      - .address_space:  global
        .offset:         16
        .size:           8
        .value_kind:     global_buffer
    .group_segment_fixed_size: 240
    .kernarg_segment_align: 8
    .kernarg_segment_size: 24
    .language:       OpenCL C
    .language_version:
      - 2
      - 0
    .max_flat_workgroup_size: 128
    .name:           _Z23fp32_router_gemm_kernelIfLi128ELi15ELi256ELi3072EEvPfPKT_PKf
    .private_segment_fixed_size: 0
    .sgpr_count:     27
    .sgpr_spill_count: 0
    .symbol:         _Z23fp32_router_gemm_kernelIfLi128ELi15ELi256ELi3072EEvPfPKT_PKf.kd
    .uniform_work_group_size: 1
    .uses_dynamic_stack: false
    .vgpr_count:     41
    .vgpr_spill_count: 0
    .wavefront_size: 64
  - .agpr_count:     0
    .args:
      - .address_space:  global
        .offset:         0
        .size:           8
        .value_kind:     global_buffer
      - .address_space:  global
        .offset:         8
        .size:           8
        .value_kind:     global_buffer
      - .address_space:  global
        .offset:         16
        .size:           8
        .value_kind:     global_buffer
    .group_segment_fixed_size: 256
    .kernarg_segment_align: 8
    .kernarg_segment_size: 24
    .language:       OpenCL C
    .language_version:
      - 2
      - 0
    .max_flat_workgroup_size: 128
    .name:           _Z23fp32_router_gemm_kernelIfLi128ELi16ELi256ELi3072EEvPfPKT_PKf
    .private_segment_fixed_size: 0
    .sgpr_count:     28
    .sgpr_spill_count: 0
    .symbol:         _Z23fp32_router_gemm_kernelIfLi128ELi16ELi256ELi3072EEvPfPKT_PKf.kd
    .uniform_work_group_size: 1
    .uses_dynamic_stack: false
    .vgpr_count:     42
    .vgpr_spill_count: 0
    .wavefront_size: 64
  - .agpr_count:     0
    .args:
      - .address_space:  global
        .offset:         0
        .size:           8
        .value_kind:     global_buffer
      - .address_space:  global
        .offset:         8
        .size:           8
        .value_kind:     global_buffer
      - .address_space:  global
        .offset:         16
        .size:           8
        .value_kind:     global_buffer
    .group_segment_fixed_size: 272
    .kernarg_segment_align: 8
    .kernarg_segment_size: 24
    .language:       OpenCL C
    .language_version:
      - 2
      - 0
    .max_flat_workgroup_size: 128
    .name:           _Z23fp32_router_gemm_kernelIfLi128ELi17ELi256ELi3072EEvPfPKT_PKf
    .private_segment_fixed_size: 0
    .sgpr_count:     29
    .sgpr_spill_count: 0
    .symbol:         _Z23fp32_router_gemm_kernelIfLi128ELi17ELi256ELi3072EEvPfPKT_PKf.kd
    .uniform_work_group_size: 1
    .uses_dynamic_stack: false
    .vgpr_count:     48
    .vgpr_spill_count: 0
    .wavefront_size: 64
  - .agpr_count:     0
    .args:
      - .address_space:  global
        .offset:         0
        .size:           8
        .value_kind:     global_buffer
      - .address_space:  global
        .offset:         8
        .size:           8
        .value_kind:     global_buffer
      - .address_space:  global
        .offset:         16
        .size:           8
        .value_kind:     global_buffer
    .group_segment_fixed_size: 288
    .kernarg_segment_align: 8
    .kernarg_segment_size: 24
    .language:       OpenCL C
    .language_version:
      - 2
      - 0
    .max_flat_workgroup_size: 128
    .name:           _Z23fp32_router_gemm_kernelIfLi128ELi18ELi256ELi3072EEvPfPKT_PKf
    .private_segment_fixed_size: 0
    .sgpr_count:     30
    .sgpr_spill_count: 0
    .symbol:         _Z23fp32_router_gemm_kernelIfLi128ELi18ELi256ELi3072EEvPfPKT_PKf.kd
    .uniform_work_group_size: 1
    .uses_dynamic_stack: false
    .vgpr_count:     49
    .vgpr_spill_count: 0
    .wavefront_size: 64
  - .agpr_count:     0
    .args:
      - .address_space:  global
        .offset:         0
        .size:           8
        .value_kind:     global_buffer
      - .address_space:  global
        .offset:         8
        .size:           8
        .value_kind:     global_buffer
      - .address_space:  global
        .offset:         16
        .size:           8
        .value_kind:     global_buffer
    .group_segment_fixed_size: 304
    .kernarg_segment_align: 8
    .kernarg_segment_size: 24
    .language:       OpenCL C
    .language_version:
      - 2
      - 0
    .max_flat_workgroup_size: 128
    .name:           _Z23fp32_router_gemm_kernelIfLi128ELi19ELi256ELi3072EEvPfPKT_PKf
    .private_segment_fixed_size: 0
    .sgpr_count:     31
    .sgpr_spill_count: 0
    .symbol:         _Z23fp32_router_gemm_kernelIfLi128ELi19ELi256ELi3072EEvPfPKT_PKf.kd
    .uniform_work_group_size: 1
    .uses_dynamic_stack: false
    .vgpr_count:     50
    .vgpr_spill_count: 0
    .wavefront_size: 64
  - .agpr_count:     0
    .args:
      - .address_space:  global
        .offset:         0
        .size:           8
        .value_kind:     global_buffer
      - .address_space:  global
        .offset:         8
        .size:           8
        .value_kind:     global_buffer
      - .address_space:  global
        .offset:         16
        .size:           8
        .value_kind:     global_buffer
    .group_segment_fixed_size: 320
    .kernarg_segment_align: 8
    .kernarg_segment_size: 24
    .language:       OpenCL C
    .language_version:
      - 2
      - 0
    .max_flat_workgroup_size: 128
    .name:           _Z23fp32_router_gemm_kernelIfLi128ELi20ELi256ELi3072EEvPfPKT_PKf
    .private_segment_fixed_size: 0
    .sgpr_count:     32
    .sgpr_spill_count: 0
    .symbol:         _Z23fp32_router_gemm_kernelIfLi128ELi20ELi256ELi3072EEvPfPKT_PKf.kd
    .uniform_work_group_size: 1
    .uses_dynamic_stack: false
    .vgpr_count:     51
    .vgpr_spill_count: 0
    .wavefront_size: 64
  - .agpr_count:     0
    .args:
      - .address_space:  global
        .offset:         0
        .size:           8
        .value_kind:     global_buffer
      - .address_space:  global
        .offset:         8
        .size:           8
        .value_kind:     global_buffer
      - .address_space:  global
        .offset:         16
        .size:           8
        .value_kind:     global_buffer
    .group_segment_fixed_size: 336
    .kernarg_segment_align: 8
    .kernarg_segment_size: 24
    .language:       OpenCL C
    .language_version:
      - 2
      - 0
    .max_flat_workgroup_size: 128
    .name:           _Z23fp32_router_gemm_kernelIfLi128ELi21ELi256ELi3072EEvPfPKT_PKf
    .private_segment_fixed_size: 0
    .sgpr_count:     33
    .sgpr_spill_count: 0
    .symbol:         _Z23fp32_router_gemm_kernelIfLi128ELi21ELi256ELi3072EEvPfPKT_PKf.kd
    .uniform_work_group_size: 1
    .uses_dynamic_stack: false
    .vgpr_count:     52
    .vgpr_spill_count: 0
    .wavefront_size: 64
  - .agpr_count:     0
    .args:
      - .address_space:  global
        .offset:         0
        .size:           8
        .value_kind:     global_buffer
      - .address_space:  global
        .offset:         8
        .size:           8
        .value_kind:     global_buffer
      - .address_space:  global
        .offset:         16
        .size:           8
        .value_kind:     global_buffer
    .group_segment_fixed_size: 352
    .kernarg_segment_align: 8
    .kernarg_segment_size: 24
    .language:       OpenCL C
    .language_version:
      - 2
      - 0
    .max_flat_workgroup_size: 128
    .name:           _Z23fp32_router_gemm_kernelIfLi128ELi22ELi256ELi3072EEvPfPKT_PKf
    .private_segment_fixed_size: 0
    .sgpr_count:     34
    .sgpr_spill_count: 0
    .symbol:         _Z23fp32_router_gemm_kernelIfLi128ELi22ELi256ELi3072EEvPfPKT_PKf.kd
    .uniform_work_group_size: 1
    .uses_dynamic_stack: false
    .vgpr_count:     53
    .vgpr_spill_count: 0
    .wavefront_size: 64
  - .agpr_count:     0
    .args:
      - .address_space:  global
        .offset:         0
        .size:           8
        .value_kind:     global_buffer
      - .address_space:  global
        .offset:         8
        .size:           8
        .value_kind:     global_buffer
      - .address_space:  global
        .offset:         16
        .size:           8
        .value_kind:     global_buffer
    .group_segment_fixed_size: 368
    .kernarg_segment_align: 8
    .kernarg_segment_size: 24
    .language:       OpenCL C
    .language_version:
      - 2
      - 0
    .max_flat_workgroup_size: 128
    .name:           _Z23fp32_router_gemm_kernelIfLi128ELi23ELi256ELi3072EEvPfPKT_PKf
    .private_segment_fixed_size: 0
    .sgpr_count:     35
    .sgpr_spill_count: 0
    .symbol:         _Z23fp32_router_gemm_kernelIfLi128ELi23ELi256ELi3072EEvPfPKT_PKf.kd
    .uniform_work_group_size: 1
    .uses_dynamic_stack: false
    .vgpr_count:     54
    .vgpr_spill_count: 0
    .wavefront_size: 64
  - .agpr_count:     0
    .args:
      - .address_space:  global
        .offset:         0
        .size:           8
        .value_kind:     global_buffer
      - .address_space:  global
        .offset:         8
        .size:           8
        .value_kind:     global_buffer
      - .address_space:  global
        .offset:         16
        .size:           8
        .value_kind:     global_buffer
    .group_segment_fixed_size: 384
    .kernarg_segment_align: 8
    .kernarg_segment_size: 24
    .language:       OpenCL C
    .language_version:
      - 2
      - 0
    .max_flat_workgroup_size: 128
    .name:           _Z23fp32_router_gemm_kernelIfLi128ELi24ELi256ELi3072EEvPfPKT_PKf
    .private_segment_fixed_size: 0
    .sgpr_count:     36
    .sgpr_spill_count: 0
    .symbol:         _Z23fp32_router_gemm_kernelIfLi128ELi24ELi256ELi3072EEvPfPKT_PKf.kd
    .uniform_work_group_size: 1
    .uses_dynamic_stack: false
    .vgpr_count:     55
    .vgpr_spill_count: 0
    .wavefront_size: 64
  - .agpr_count:     0
    .args:
      - .address_space:  global
        .offset:         0
        .size:           8
        .value_kind:     global_buffer
      - .address_space:  global
        .offset:         8
        .size:           8
        .value_kind:     global_buffer
      - .address_space:  global
        .offset:         16
        .size:           8
        .value_kind:     global_buffer
    .group_segment_fixed_size: 400
    .kernarg_segment_align: 8
    .kernarg_segment_size: 24
    .language:       OpenCL C
    .language_version:
      - 2
      - 0
    .max_flat_workgroup_size: 128
    .name:           _Z23fp32_router_gemm_kernelIfLi128ELi25ELi256ELi3072EEvPfPKT_PKf
    .private_segment_fixed_size: 0
    .sgpr_count:     38
    .sgpr_spill_count: 0
    .symbol:         _Z23fp32_router_gemm_kernelIfLi128ELi25ELi256ELi3072EEvPfPKT_PKf.kd
    .uniform_work_group_size: 1
    .uses_dynamic_stack: false
    .vgpr_count:     56
    .vgpr_spill_count: 0
    .wavefront_size: 64
  - .agpr_count:     0
    .args:
      - .address_space:  global
        .offset:         0
        .size:           8
        .value_kind:     global_buffer
      - .address_space:  global
        .offset:         8
        .size:           8
        .value_kind:     global_buffer
      - .address_space:  global
        .offset:         16
        .size:           8
        .value_kind:     global_buffer
    .group_segment_fixed_size: 416
    .kernarg_segment_align: 8
    .kernarg_segment_size: 24
    .language:       OpenCL C
    .language_version:
      - 2
      - 0
    .max_flat_workgroup_size: 128
    .name:           _Z23fp32_router_gemm_kernelIfLi128ELi26ELi256ELi3072EEvPfPKT_PKf
    .private_segment_fixed_size: 0
    .sgpr_count:     39
    .sgpr_spill_count: 0
    .symbol:         _Z23fp32_router_gemm_kernelIfLi128ELi26ELi256ELi3072EEvPfPKT_PKf.kd
    .uniform_work_group_size: 1
    .uses_dynamic_stack: false
    .vgpr_count:     57
    .vgpr_spill_count: 0
    .wavefront_size: 64
  - .agpr_count:     0
    .args:
      - .address_space:  global
        .offset:         0
        .size:           8
        .value_kind:     global_buffer
      - .address_space:  global
        .offset:         8
        .size:           8
        .value_kind:     global_buffer
      - .address_space:  global
        .offset:         16
        .size:           8
        .value_kind:     global_buffer
    .group_segment_fixed_size: 432
    .kernarg_segment_align: 8
    .kernarg_segment_size: 24
    .language:       OpenCL C
    .language_version:
      - 2
      - 0
    .max_flat_workgroup_size: 128
    .name:           _Z23fp32_router_gemm_kernelIfLi128ELi27ELi256ELi3072EEvPfPKT_PKf
    .private_segment_fixed_size: 0
    .sgpr_count:     40
    .sgpr_spill_count: 0
    .symbol:         _Z23fp32_router_gemm_kernelIfLi128ELi27ELi256ELi3072EEvPfPKT_PKf.kd
    .uniform_work_group_size: 1
    .uses_dynamic_stack: false
    .vgpr_count:     58
    .vgpr_spill_count: 0
    .wavefront_size: 64
  - .agpr_count:     0
    .args:
      - .address_space:  global
        .offset:         0
        .size:           8
        .value_kind:     global_buffer
      - .address_space:  global
        .offset:         8
        .size:           8
        .value_kind:     global_buffer
      - .address_space:  global
        .offset:         16
        .size:           8
        .value_kind:     global_buffer
    .group_segment_fixed_size: 448
    .kernarg_segment_align: 8
    .kernarg_segment_size: 24
    .language:       OpenCL C
    .language_version:
      - 2
      - 0
    .max_flat_workgroup_size: 128
    .name:           _Z23fp32_router_gemm_kernelIfLi128ELi28ELi256ELi3072EEvPfPKT_PKf
    .private_segment_fixed_size: 0
    .sgpr_count:     41
    .sgpr_spill_count: 0
    .symbol:         _Z23fp32_router_gemm_kernelIfLi128ELi28ELi256ELi3072EEvPfPKT_PKf.kd
    .uniform_work_group_size: 1
    .uses_dynamic_stack: false
    .vgpr_count:     59
    .vgpr_spill_count: 0
    .wavefront_size: 64
  - .agpr_count:     0
    .args:
      - .address_space:  global
        .offset:         0
        .size:           8
        .value_kind:     global_buffer
      - .address_space:  global
        .offset:         8
        .size:           8
        .value_kind:     global_buffer
      - .address_space:  global
        .offset:         16
        .size:           8
        .value_kind:     global_buffer
    .group_segment_fixed_size: 464
    .kernarg_segment_align: 8
    .kernarg_segment_size: 24
    .language:       OpenCL C
    .language_version:
      - 2
      - 0
    .max_flat_workgroup_size: 128
    .name:           _Z23fp32_router_gemm_kernelIfLi128ELi29ELi256ELi3072EEvPfPKT_PKf
    .private_segment_fixed_size: 0
    .sgpr_count:     42
    .sgpr_spill_count: 0
    .symbol:         _Z23fp32_router_gemm_kernelIfLi128ELi29ELi256ELi3072EEvPfPKT_PKf.kd
    .uniform_work_group_size: 1
    .uses_dynamic_stack: false
    .vgpr_count:     60
    .vgpr_spill_count: 0
    .wavefront_size: 64
  - .agpr_count:     0
    .args:
      - .address_space:  global
        .offset:         0
        .size:           8
        .value_kind:     global_buffer
      - .address_space:  global
        .offset:         8
        .size:           8
        .value_kind:     global_buffer
      - .address_space:  global
        .offset:         16
        .size:           8
        .value_kind:     global_buffer
    .group_segment_fixed_size: 480
    .kernarg_segment_align: 8
    .kernarg_segment_size: 24
    .language:       OpenCL C
    .language_version:
      - 2
      - 0
    .max_flat_workgroup_size: 128
    .name:           _Z23fp32_router_gemm_kernelIfLi128ELi30ELi256ELi3072EEvPfPKT_PKf
    .private_segment_fixed_size: 0
    .sgpr_count:     43
    .sgpr_spill_count: 0
    .symbol:         _Z23fp32_router_gemm_kernelIfLi128ELi30ELi256ELi3072EEvPfPKT_PKf.kd
    .uniform_work_group_size: 1
    .uses_dynamic_stack: false
    .vgpr_count:     61
    .vgpr_spill_count: 0
    .wavefront_size: 64
  - .agpr_count:     0
    .args:
      - .address_space:  global
        .offset:         0
        .size:           8
        .value_kind:     global_buffer
      - .address_space:  global
        .offset:         8
        .size:           8
        .value_kind:     global_buffer
      - .address_space:  global
        .offset:         16
        .size:           8
        .value_kind:     global_buffer
    .group_segment_fixed_size: 496
    .kernarg_segment_align: 8
    .kernarg_segment_size: 24
    .language:       OpenCL C
    .language_version:
      - 2
      - 0
    .max_flat_workgroup_size: 128
    .name:           _Z23fp32_router_gemm_kernelIfLi128ELi31ELi256ELi3072EEvPfPKT_PKf
    .private_segment_fixed_size: 0
    .sgpr_count:     44
    .sgpr_spill_count: 0
    .symbol:         _Z23fp32_router_gemm_kernelIfLi128ELi31ELi256ELi3072EEvPfPKT_PKf.kd
    .uniform_work_group_size: 1
    .uses_dynamic_stack: false
    .vgpr_count:     62
    .vgpr_spill_count: 0
    .wavefront_size: 64
  - .agpr_count:     0
    .args:
      - .address_space:  global
        .offset:         0
        .size:           8
        .value_kind:     global_buffer
      - .address_space:  global
        .offset:         8
        .size:           8
        .value_kind:     global_buffer
      - .address_space:  global
        .offset:         16
        .size:           8
        .value_kind:     global_buffer
    .group_segment_fixed_size: 512
    .kernarg_segment_align: 8
    .kernarg_segment_size: 24
    .language:       OpenCL C
    .language_version:
      - 2
      - 0
    .max_flat_workgroup_size: 128
    .name:           _Z23fp32_router_gemm_kernelIfLi128ELi32ELi256ELi3072EEvPfPKT_PKf
    .private_segment_fixed_size: 0
    .sgpr_count:     45
    .sgpr_spill_count: 0
    .symbol:         _Z23fp32_router_gemm_kernelIfLi128ELi32ELi256ELi3072EEvPfPKT_PKf.kd
    .uniform_work_group_size: 1
    .uses_dynamic_stack: false
    .vgpr_count:     63
    .vgpr_spill_count: 0
    .wavefront_size: 64
  - .agpr_count:     0
    .args:
      - .address_space:  global
        .offset:         0
        .size:           8
        .value_kind:     global_buffer
      - .address_space:  global
        .offset:         8
        .size:           8
        .value_kind:     global_buffer
      - .address_space:  global
        .offset:         16
        .size:           8
        .value_kind:     global_buffer
    .group_segment_fixed_size: 16
    .kernarg_segment_align: 8
    .kernarg_segment_size: 24
    .language:       OpenCL C
    .language_version:
      - 2
      - 0
    .max_flat_workgroup_size: 128
    .name:           _Z23fp32_router_gemm_kernelI14__hip_bfloat16Li128ELi1ELi256ELi3072EEvPfPKT_PKf
    .private_segment_fixed_size: 0
    .sgpr_count:     15
    .sgpr_spill_count: 0
    .symbol:         _Z23fp32_router_gemm_kernelI14__hip_bfloat16Li128ELi1ELi256ELi3072EEvPfPKT_PKf.kd
    .uniform_work_group_size: 1
    .uses_dynamic_stack: false
    .vgpr_count:     45
    .vgpr_spill_count: 0
    .wavefront_size: 64
  - .agpr_count:     0
    .args:
      - .address_space:  global
        .offset:         0
        .size:           8
        .value_kind:     global_buffer
      - .address_space:  global
        .offset:         8
        .size:           8
        .value_kind:     global_buffer
      - .address_space:  global
        .offset:         16
        .size:           8
        .value_kind:     global_buffer
    .group_segment_fixed_size: 32
    .kernarg_segment_align: 8
    .kernarg_segment_size: 24
    .language:       OpenCL C
    .language_version:
      - 2
      - 0
    .max_flat_workgroup_size: 128
    .name:           _Z23fp32_router_gemm_kernelI14__hip_bfloat16Li128ELi2ELi256ELi3072EEvPfPKT_PKf
    .private_segment_fixed_size: 0
    .sgpr_count:     14
    .sgpr_spill_count: 0
    .symbol:         _Z23fp32_router_gemm_kernelI14__hip_bfloat16Li128ELi2ELi256ELi3072EEvPfPKT_PKf.kd
    .uniform_work_group_size: 1
    .uses_dynamic_stack: false
    .vgpr_count:     62
    .vgpr_spill_count: 0
    .wavefront_size: 64
  - .agpr_count:     0
    .args:
      - .address_space:  global
        .offset:         0
        .size:           8
        .value_kind:     global_buffer
      - .address_space:  global
        .offset:         8
        .size:           8
        .value_kind:     global_buffer
      - .address_space:  global
        .offset:         16
        .size:           8
        .value_kind:     global_buffer
    .group_segment_fixed_size: 48
    .kernarg_segment_align: 8
    .kernarg_segment_size: 24
    .language:       OpenCL C
    .language_version:
      - 2
      - 0
    .max_flat_workgroup_size: 128
    .name:           _Z23fp32_router_gemm_kernelI14__hip_bfloat16Li128ELi3ELi256ELi3072EEvPfPKT_PKf
    .private_segment_fixed_size: 0
    .sgpr_count:     14
    .sgpr_spill_count: 0
    .symbol:         _Z23fp32_router_gemm_kernelI14__hip_bfloat16Li128ELi3ELi256ELi3072EEvPfPKT_PKf.kd
    .uniform_work_group_size: 1
    .uses_dynamic_stack: false
    .vgpr_count:     70
    .vgpr_spill_count: 0
    .wavefront_size: 64
  - .agpr_count:     0
    .args:
      - .address_space:  global
        .offset:         0
        .size:           8
        .value_kind:     global_buffer
      - .address_space:  global
        .offset:         8
        .size:           8
        .value_kind:     global_buffer
      - .address_space:  global
        .offset:         16
        .size:           8
        .value_kind:     global_buffer
    .group_segment_fixed_size: 64
    .kernarg_segment_align: 8
    .kernarg_segment_size: 24
    .language:       OpenCL C
    .language_version:
      - 2
      - 0
    .max_flat_workgroup_size: 128
    .name:           _Z23fp32_router_gemm_kernelI14__hip_bfloat16Li128ELi4ELi256ELi3072EEvPfPKT_PKf
    .private_segment_fixed_size: 0
    .sgpr_count:     16
    .sgpr_spill_count: 0
    .symbol:         _Z23fp32_router_gemm_kernelI14__hip_bfloat16Li128ELi4ELi256ELi3072EEvPfPKT_PKf.kd
    .uniform_work_group_size: 1
    .uses_dynamic_stack: false
    .vgpr_count:     72
    .vgpr_spill_count: 0
    .wavefront_size: 64
  - .agpr_count:     0
    .args:
      - .address_space:  global
        .offset:         0
        .size:           8
        .value_kind:     global_buffer
      - .address_space:  global
        .offset:         8
        .size:           8
        .value_kind:     global_buffer
      - .address_space:  global
        .offset:         16
        .size:           8
        .value_kind:     global_buffer
    .group_segment_fixed_size: 80
    .kernarg_segment_align: 8
    .kernarg_segment_size: 24
    .language:       OpenCL C
    .language_version:
      - 2
      - 0
    .max_flat_workgroup_size: 128
    .name:           _Z23fp32_router_gemm_kernelI14__hip_bfloat16Li128ELi5ELi256ELi3072EEvPfPKT_PKf
    .private_segment_fixed_size: 0
    .sgpr_count:     18
    .sgpr_spill_count: 0
    .symbol:         _Z23fp32_router_gemm_kernelI14__hip_bfloat16Li128ELi5ELi256ELi3072EEvPfPKT_PKf.kd
    .uniform_work_group_size: 1
    .uses_dynamic_stack: false
    .vgpr_count:     105
    .vgpr_spill_count: 0
    .wavefront_size: 64
  - .agpr_count:     0
    .args:
      - .address_space:  global
        .offset:         0
        .size:           8
        .value_kind:     global_buffer
      - .address_space:  global
        .offset:         8
        .size:           8
        .value_kind:     global_buffer
      - .address_space:  global
        .offset:         16
        .size:           8
        .value_kind:     global_buffer
    .group_segment_fixed_size: 96
    .kernarg_segment_align: 8
    .kernarg_segment_size: 24
    .language:       OpenCL C
    .language_version:
      - 2
      - 0
    .max_flat_workgroup_size: 128
    .name:           _Z23fp32_router_gemm_kernelI14__hip_bfloat16Li128ELi6ELi256ELi3072EEvPfPKT_PKf
    .private_segment_fixed_size: 0
    .sgpr_count:     16
    .sgpr_spill_count: 0
    .symbol:         _Z23fp32_router_gemm_kernelI14__hip_bfloat16Li128ELi6ELi256ELi3072EEvPfPKT_PKf.kd
    .uniform_work_group_size: 1
    .uses_dynamic_stack: false
    .vgpr_count:     102
    .vgpr_spill_count: 0
    .wavefront_size: 64
  - .agpr_count:     0
    .args:
      - .address_space:  global
        .offset:         0
        .size:           8
        .value_kind:     global_buffer
      - .address_space:  global
        .offset:         8
        .size:           8
        .value_kind:     global_buffer
      - .address_space:  global
        .offset:         16
        .size:           8
        .value_kind:     global_buffer
    .group_segment_fixed_size: 112
    .kernarg_segment_align: 8
    .kernarg_segment_size: 24
    .language:       OpenCL C
    .language_version:
      - 2
      - 0
    .max_flat_workgroup_size: 128
    .name:           _Z23fp32_router_gemm_kernelI14__hip_bfloat16Li128ELi7ELi256ELi3072EEvPfPKT_PKf
    .private_segment_fixed_size: 0
    .sgpr_count:     19
    .sgpr_spill_count: 0
    .symbol:         _Z23fp32_router_gemm_kernelI14__hip_bfloat16Li128ELi7ELi256ELi3072EEvPfPKT_PKf.kd
    .uniform_work_group_size: 1
    .uses_dynamic_stack: false
    .vgpr_count:     79
    .vgpr_spill_count: 0
    .wavefront_size: 64
  - .agpr_count:     0
    .args:
      - .address_space:  global
        .offset:         0
        .size:           8
        .value_kind:     global_buffer
      - .address_space:  global
        .offset:         8
        .size:           8
        .value_kind:     global_buffer
      - .address_space:  global
        .offset:         16
        .size:           8
        .value_kind:     global_buffer
    .group_segment_fixed_size: 128
    .kernarg_segment_align: 8
    .kernarg_segment_size: 24
    .language:       OpenCL C
    .language_version:
      - 2
      - 0
    .max_flat_workgroup_size: 128
    .name:           _Z23fp32_router_gemm_kernelI14__hip_bfloat16Li128ELi8ELi256ELi3072EEvPfPKT_PKf
    .private_segment_fixed_size: 0
    .sgpr_count:     20
    .sgpr_spill_count: 0
    .symbol:         _Z23fp32_router_gemm_kernelI14__hip_bfloat16Li128ELi8ELi256ELi3072EEvPfPKT_PKf.kd
    .uniform_work_group_size: 1
    .uses_dynamic_stack: false
    .vgpr_count:     88
    .vgpr_spill_count: 0
    .wavefront_size: 64
  - .agpr_count:     0
    .args:
      - .address_space:  global
        .offset:         0
        .size:           8
        .value_kind:     global_buffer
      - .address_space:  global
        .offset:         8
        .size:           8
        .value_kind:     global_buffer
      - .address_space:  global
        .offset:         16
        .size:           8
        .value_kind:     global_buffer
    .group_segment_fixed_size: 144
    .kernarg_segment_align: 8
    .kernarg_segment_size: 24
    .language:       OpenCL C
    .language_version:
      - 2
      - 0
    .max_flat_workgroup_size: 128
    .name:           _Z23fp32_router_gemm_kernelI14__hip_bfloat16Li128ELi9ELi256ELi3072EEvPfPKT_PKf
    .private_segment_fixed_size: 0
    .sgpr_count:     21
    .sgpr_spill_count: 0
    .symbol:         _Z23fp32_router_gemm_kernelI14__hip_bfloat16Li128ELi9ELi256ELi3072EEvPfPKT_PKf.kd
    .uniform_work_group_size: 1
    .uses_dynamic_stack: false
    .vgpr_count:     97
    .vgpr_spill_count: 0
    .wavefront_size: 64
  - .agpr_count:     0
    .args:
      - .address_space:  global
        .offset:         0
        .size:           8
        .value_kind:     global_buffer
      - .address_space:  global
        .offset:         8
        .size:           8
        .value_kind:     global_buffer
      - .address_space:  global
        .offset:         16
        .size:           8
        .value_kind:     global_buffer
    .group_segment_fixed_size: 160
    .kernarg_segment_align: 8
    .kernarg_segment_size: 24
    .language:       OpenCL C
    .language_version:
      - 2
      - 0
    .max_flat_workgroup_size: 128
    .name:           _Z23fp32_router_gemm_kernelI14__hip_bfloat16Li128ELi10ELi256ELi3072EEvPfPKT_PKf
    .private_segment_fixed_size: 0
    .sgpr_count:     22
    .sgpr_spill_count: 0
    .symbol:         _Z23fp32_router_gemm_kernelI14__hip_bfloat16Li128ELi10ELi256ELi3072EEvPfPKT_PKf.kd
    .uniform_work_group_size: 1
    .uses_dynamic_stack: false
    .vgpr_count:     106
    .vgpr_spill_count: 0
    .wavefront_size: 64
  - .agpr_count:     0
    .args:
      - .address_space:  global
        .offset:         0
        .size:           8
        .value_kind:     global_buffer
      - .address_space:  global
        .offset:         8
        .size:           8
        .value_kind:     global_buffer
      - .address_space:  global
        .offset:         16
        .size:           8
        .value_kind:     global_buffer
    .group_segment_fixed_size: 176
    .kernarg_segment_align: 8
    .kernarg_segment_size: 24
    .language:       OpenCL C
    .language_version:
      - 2
      - 0
    .max_flat_workgroup_size: 128
    .name:           _Z23fp32_router_gemm_kernelI14__hip_bfloat16Li128ELi11ELi256ELi3072EEvPfPKT_PKf
    .private_segment_fixed_size: 0
    .sgpr_count:     23
    .sgpr_spill_count: 0
    .symbol:         _Z23fp32_router_gemm_kernelI14__hip_bfloat16Li128ELi11ELi256ELi3072EEvPfPKT_PKf.kd
    .uniform_work_group_size: 1
    .uses_dynamic_stack: false
    .vgpr_count:     114
    .vgpr_spill_count: 0
    .wavefront_size: 64
  - .agpr_count:     0
    .args:
      - .address_space:  global
        .offset:         0
        .size:           8
        .value_kind:     global_buffer
      - .address_space:  global
        .offset:         8
        .size:           8
        .value_kind:     global_buffer
      - .address_space:  global
        .offset:         16
        .size:           8
        .value_kind:     global_buffer
    .group_segment_fixed_size: 192
    .kernarg_segment_align: 8
    .kernarg_segment_size: 24
    .language:       OpenCL C
    .language_version:
      - 2
      - 0
    .max_flat_workgroup_size: 128
    .name:           _Z23fp32_router_gemm_kernelI14__hip_bfloat16Li128ELi12ELi256ELi3072EEvPfPKT_PKf
    .private_segment_fixed_size: 0
    .sgpr_count:     24
    .sgpr_spill_count: 0
    .symbol:         _Z23fp32_router_gemm_kernelI14__hip_bfloat16Li128ELi12ELi256ELi3072EEvPfPKT_PKf.kd
    .uniform_work_group_size: 1
    .uses_dynamic_stack: false
    .vgpr_count:     124
    .vgpr_spill_count: 0
    .wavefront_size: 64
  - .agpr_count:     0
    .args:
      - .address_space:  global
        .offset:         0
        .size:           8
        .value_kind:     global_buffer
      - .address_space:  global
        .offset:         8
        .size:           8
        .value_kind:     global_buffer
      - .address_space:  global
        .offset:         16
        .size:           8
        .value_kind:     global_buffer
    .group_segment_fixed_size: 208
    .kernarg_segment_align: 8
    .kernarg_segment_size: 24
    .language:       OpenCL C
    .language_version:
      - 2
      - 0
    .max_flat_workgroup_size: 128
    .name:           _Z23fp32_router_gemm_kernelI14__hip_bfloat16Li128ELi13ELi256ELi3072EEvPfPKT_PKf
    .private_segment_fixed_size: 0
    .sgpr_count:     25
    .sgpr_spill_count: 0
    .symbol:         _Z23fp32_router_gemm_kernelI14__hip_bfloat16Li128ELi13ELi256ELi3072EEvPfPKT_PKf.kd
    .uniform_work_group_size: 1
    .uses_dynamic_stack: false
    .vgpr_count:     81
    .vgpr_spill_count: 0
    .wavefront_size: 64
  - .agpr_count:     0
    .args:
      - .address_space:  global
        .offset:         0
        .size:           8
        .value_kind:     global_buffer
      - .address_space:  global
        .offset:         8
        .size:           8
        .value_kind:     global_buffer
      - .address_space:  global
        .offset:         16
        .size:           8
        .value_kind:     global_buffer
    .group_segment_fixed_size: 224
    .kernarg_segment_align: 8
    .kernarg_segment_size: 24
    .language:       OpenCL C
    .language_version:
      - 2
      - 0
    .max_flat_workgroup_size: 128
    .name:           _Z23fp32_router_gemm_kernelI14__hip_bfloat16Li128ELi14ELi256ELi3072EEvPfPKT_PKf
    .private_segment_fixed_size: 0
    .sgpr_count:     26
    .sgpr_spill_count: 0
    .symbol:         _Z23fp32_router_gemm_kernelI14__hip_bfloat16Li128ELi14ELi256ELi3072EEvPfPKT_PKf.kd
    .uniform_work_group_size: 1
    .uses_dynamic_stack: false
    .vgpr_count:     85
    .vgpr_spill_count: 0
    .wavefront_size: 64
  - .agpr_count:     0
    .args:
      - .address_space:  global
        .offset:         0
        .size:           8
        .value_kind:     global_buffer
      - .address_space:  global
        .offset:         8
        .size:           8
        .value_kind:     global_buffer
      - .address_space:  global
        .offset:         16
        .size:           8
        .value_kind:     global_buffer
    .group_segment_fixed_size: 240
    .kernarg_segment_align: 8
    .kernarg_segment_size: 24
    .language:       OpenCL C
    .language_version:
      - 2
      - 0
    .max_flat_workgroup_size: 128
    .name:           _Z23fp32_router_gemm_kernelI14__hip_bfloat16Li128ELi15ELi256ELi3072EEvPfPKT_PKf
    .private_segment_fixed_size: 0
    .sgpr_count:     27
    .sgpr_spill_count: 0
    .symbol:         _Z23fp32_router_gemm_kernelI14__hip_bfloat16Li128ELi15ELi256ELi3072EEvPfPKT_PKf.kd
    .uniform_work_group_size: 1
    .uses_dynamic_stack: false
    .vgpr_count:     89
    .vgpr_spill_count: 0
    .wavefront_size: 64
  - .agpr_count:     0
    .args:
      - .address_space:  global
        .offset:         0
        .size:           8
        .value_kind:     global_buffer
      - .address_space:  global
        .offset:         8
        .size:           8
        .value_kind:     global_buffer
      - .address_space:  global
        .offset:         16
        .size:           8
        .value_kind:     global_buffer
    .group_segment_fixed_size: 256
    .kernarg_segment_align: 8
    .kernarg_segment_size: 24
    .language:       OpenCL C
    .language_version:
      - 2
      - 0
    .max_flat_workgroup_size: 128
    .name:           _Z23fp32_router_gemm_kernelI14__hip_bfloat16Li128ELi16ELi256ELi3072EEvPfPKT_PKf
    .private_segment_fixed_size: 0
    .sgpr_count:     28
    .sgpr_spill_count: 0
    .symbol:         _Z23fp32_router_gemm_kernelI14__hip_bfloat16Li128ELi16ELi256ELi3072EEvPfPKT_PKf.kd
    .uniform_work_group_size: 1
    .uses_dynamic_stack: false
    .vgpr_count:     92
    .vgpr_spill_count: 0
    .wavefront_size: 64
  - .agpr_count:     0
    .args:
      - .address_space:  global
        .offset:         0
        .size:           8
        .value_kind:     global_buffer
      - .address_space:  global
        .offset:         8
        .size:           8
        .value_kind:     global_buffer
      - .address_space:  global
        .offset:         16
        .size:           8
        .value_kind:     global_buffer
    .group_segment_fixed_size: 272
    .kernarg_segment_align: 8
    .kernarg_segment_size: 24
    .language:       OpenCL C
    .language_version:
      - 2
      - 0
    .max_flat_workgroup_size: 128
    .name:           _Z23fp32_router_gemm_kernelI14__hip_bfloat16Li128ELi17ELi256ELi3072EEvPfPKT_PKf
    .private_segment_fixed_size: 0
    .sgpr_count:     29
    .sgpr_spill_count: 0
    .symbol:         _Z23fp32_router_gemm_kernelI14__hip_bfloat16Li128ELi17ELi256ELi3072EEvPfPKT_PKf.kd
    .uniform_work_group_size: 1
    .uses_dynamic_stack: false
    .vgpr_count:     38
    .vgpr_spill_count: 0
    .wavefront_size: 64
  - .agpr_count:     0
    .args:
      - .address_space:  global
        .offset:         0
        .size:           8
        .value_kind:     global_buffer
      - .address_space:  global
        .offset:         8
        .size:           8
        .value_kind:     global_buffer
      - .address_space:  global
        .offset:         16
        .size:           8
        .value_kind:     global_buffer
    .group_segment_fixed_size: 288
    .kernarg_segment_align: 8
    .kernarg_segment_size: 24
    .language:       OpenCL C
    .language_version:
      - 2
      - 0
    .max_flat_workgroup_size: 128
    .name:           _Z23fp32_router_gemm_kernelI14__hip_bfloat16Li128ELi18ELi256ELi3072EEvPfPKT_PKf
    .private_segment_fixed_size: 0
    .sgpr_count:     30
    .sgpr_spill_count: 0
    .symbol:         _Z23fp32_router_gemm_kernelI14__hip_bfloat16Li128ELi18ELi256ELi3072EEvPfPKT_PKf.kd
    .uniform_work_group_size: 1
    .uses_dynamic_stack: false
    .vgpr_count:     40
    .vgpr_spill_count: 0
    .wavefront_size: 64
  - .agpr_count:     0
    .args:
      - .address_space:  global
        .offset:         0
        .size:           8
        .value_kind:     global_buffer
      - .address_space:  global
        .offset:         8
        .size:           8
        .value_kind:     global_buffer
      - .address_space:  global
        .offset:         16
        .size:           8
        .value_kind:     global_buffer
    .group_segment_fixed_size: 304
    .kernarg_segment_align: 8
    .kernarg_segment_size: 24
    .language:       OpenCL C
    .language_version:
      - 2
      - 0
    .max_flat_workgroup_size: 128
    .name:           _Z23fp32_router_gemm_kernelI14__hip_bfloat16Li128ELi19ELi256ELi3072EEvPfPKT_PKf
    .private_segment_fixed_size: 0
    .sgpr_count:     31
    .sgpr_spill_count: 0
    .symbol:         _Z23fp32_router_gemm_kernelI14__hip_bfloat16Li128ELi19ELi256ELi3072EEvPfPKT_PKf.kd
    .uniform_work_group_size: 1
    .uses_dynamic_stack: false
    .vgpr_count:     40
    .vgpr_spill_count: 0
    .wavefront_size: 64
  - .agpr_count:     0
    .args:
      - .address_space:  global
        .offset:         0
        .size:           8
        .value_kind:     global_buffer
      - .address_space:  global
        .offset:         8
        .size:           8
        .value_kind:     global_buffer
      - .address_space:  global
        .offset:         16
        .size:           8
        .value_kind:     global_buffer
    .group_segment_fixed_size: 320
    .kernarg_segment_align: 8
    .kernarg_segment_size: 24
    .language:       OpenCL C
    .language_version:
      - 2
      - 0
    .max_flat_workgroup_size: 128
    .name:           _Z23fp32_router_gemm_kernelI14__hip_bfloat16Li128ELi20ELi256ELi3072EEvPfPKT_PKf
    .private_segment_fixed_size: 0
    .sgpr_count:     32
    .sgpr_spill_count: 0
    .symbol:         _Z23fp32_router_gemm_kernelI14__hip_bfloat16Li128ELi20ELi256ELi3072EEvPfPKT_PKf.kd
    .uniform_work_group_size: 1
    .uses_dynamic_stack: false
    .vgpr_count:     42
    .vgpr_spill_count: 0
    .wavefront_size: 64
  - .agpr_count:     0
    .args:
      - .address_space:  global
        .offset:         0
        .size:           8
        .value_kind:     global_buffer
      - .address_space:  global
        .offset:         8
        .size:           8
        .value_kind:     global_buffer
      - .address_space:  global
        .offset:         16
        .size:           8
        .value_kind:     global_buffer
    .group_segment_fixed_size: 336
    .kernarg_segment_align: 8
    .kernarg_segment_size: 24
    .language:       OpenCL C
    .language_version:
      - 2
      - 0
    .max_flat_workgroup_size: 128
    .name:           _Z23fp32_router_gemm_kernelI14__hip_bfloat16Li128ELi21ELi256ELi3072EEvPfPKT_PKf
    .private_segment_fixed_size: 0
    .sgpr_count:     33
    .sgpr_spill_count: 0
    .symbol:         _Z23fp32_router_gemm_kernelI14__hip_bfloat16Li128ELi21ELi256ELi3072EEvPfPKT_PKf.kd
    .uniform_work_group_size: 1
    .uses_dynamic_stack: false
    .vgpr_count:     42
    .vgpr_spill_count: 0
    .wavefront_size: 64
  - .agpr_count:     0
    .args:
      - .address_space:  global
        .offset:         0
        .size:           8
        .value_kind:     global_buffer
      - .address_space:  global
        .offset:         8
        .size:           8
        .value_kind:     global_buffer
      - .address_space:  global
        .offset:         16
        .size:           8
        .value_kind:     global_buffer
    .group_segment_fixed_size: 352
    .kernarg_segment_align: 8
    .kernarg_segment_size: 24
    .language:       OpenCL C
    .language_version:
      - 2
      - 0
    .max_flat_workgroup_size: 128
    .name:           _Z23fp32_router_gemm_kernelI14__hip_bfloat16Li128ELi22ELi256ELi3072EEvPfPKT_PKf
    .private_segment_fixed_size: 0
    .sgpr_count:     34
    .sgpr_spill_count: 0
    .symbol:         _Z23fp32_router_gemm_kernelI14__hip_bfloat16Li128ELi22ELi256ELi3072EEvPfPKT_PKf.kd
    .uniform_work_group_size: 1
    .uses_dynamic_stack: false
    .vgpr_count:     44
    .vgpr_spill_count: 0
    .wavefront_size: 64
  - .agpr_count:     0
    .args:
      - .address_space:  global
        .offset:         0
        .size:           8
        .value_kind:     global_buffer
      - .address_space:  global
        .offset:         8
        .size:           8
        .value_kind:     global_buffer
      - .address_space:  global
        .offset:         16
        .size:           8
        .value_kind:     global_buffer
    .group_segment_fixed_size: 368
    .kernarg_segment_align: 8
    .kernarg_segment_size: 24
    .language:       OpenCL C
    .language_version:
      - 2
      - 0
    .max_flat_workgroup_size: 128
    .name:           _Z23fp32_router_gemm_kernelI14__hip_bfloat16Li128ELi23ELi256ELi3072EEvPfPKT_PKf
    .private_segment_fixed_size: 0
    .sgpr_count:     35
    .sgpr_spill_count: 0
    .symbol:         _Z23fp32_router_gemm_kernelI14__hip_bfloat16Li128ELi23ELi256ELi3072EEvPfPKT_PKf.kd
    .uniform_work_group_size: 1
    .uses_dynamic_stack: false
    .vgpr_count:     44
    .vgpr_spill_count: 0
    .wavefront_size: 64
  - .agpr_count:     0
    .args:
      - .address_space:  global
        .offset:         0
        .size:           8
        .value_kind:     global_buffer
      - .address_space:  global
        .offset:         8
        .size:           8
        .value_kind:     global_buffer
      - .address_space:  global
        .offset:         16
        .size:           8
        .value_kind:     global_buffer
    .group_segment_fixed_size: 384
    .kernarg_segment_align: 8
    .kernarg_segment_size: 24
    .language:       OpenCL C
    .language_version:
      - 2
      - 0
    .max_flat_workgroup_size: 128
    .name:           _Z23fp32_router_gemm_kernelI14__hip_bfloat16Li128ELi24ELi256ELi3072EEvPfPKT_PKf
    .private_segment_fixed_size: 0
    .sgpr_count:     36
    .sgpr_spill_count: 0
    .symbol:         _Z23fp32_router_gemm_kernelI14__hip_bfloat16Li128ELi24ELi256ELi3072EEvPfPKT_PKf.kd
    .uniform_work_group_size: 1
    .uses_dynamic_stack: false
    .vgpr_count:     46
    .vgpr_spill_count: 0
    .wavefront_size: 64
  - .agpr_count:     0
    .args:
      - .address_space:  global
        .offset:         0
        .size:           8
        .value_kind:     global_buffer
      - .address_space:  global
        .offset:         8
        .size:           8
        .value_kind:     global_buffer
      - .address_space:  global
        .offset:         16
        .size:           8
        .value_kind:     global_buffer
    .group_segment_fixed_size: 400
    .kernarg_segment_align: 8
    .kernarg_segment_size: 24
    .language:       OpenCL C
    .language_version:
      - 2
      - 0
    .max_flat_workgroup_size: 128
    .name:           _Z23fp32_router_gemm_kernelI14__hip_bfloat16Li128ELi25ELi256ELi3072EEvPfPKT_PKf
    .private_segment_fixed_size: 0
    .sgpr_count:     38
    .sgpr_spill_count: 0
    .symbol:         _Z23fp32_router_gemm_kernelI14__hip_bfloat16Li128ELi25ELi256ELi3072EEvPfPKT_PKf.kd
    .uniform_work_group_size: 1
    .uses_dynamic_stack: false
    .vgpr_count:     46
    .vgpr_spill_count: 0
    .wavefront_size: 64
  - .agpr_count:     0
    .args:
      - .address_space:  global
        .offset:         0
        .size:           8
        .value_kind:     global_buffer
      - .address_space:  global
        .offset:         8
        .size:           8
        .value_kind:     global_buffer
      - .address_space:  global
        .offset:         16
        .size:           8
        .value_kind:     global_buffer
    .group_segment_fixed_size: 416
    .kernarg_segment_align: 8
    .kernarg_segment_size: 24
    .language:       OpenCL C
    .language_version:
      - 2
      - 0
    .max_flat_workgroup_size: 128
    .name:           _Z23fp32_router_gemm_kernelI14__hip_bfloat16Li128ELi26ELi256ELi3072EEvPfPKT_PKf
    .private_segment_fixed_size: 0
    .sgpr_count:     39
    .sgpr_spill_count: 0
    .symbol:         _Z23fp32_router_gemm_kernelI14__hip_bfloat16Li128ELi26ELi256ELi3072EEvPfPKT_PKf.kd
    .uniform_work_group_size: 1
    .uses_dynamic_stack: false
    .vgpr_count:     48
    .vgpr_spill_count: 0
    .wavefront_size: 64
  - .agpr_count:     0
    .args:
      - .address_space:  global
        .offset:         0
        .size:           8
        .value_kind:     global_buffer
      - .address_space:  global
        .offset:         8
        .size:           8
        .value_kind:     global_buffer
      - .address_space:  global
        .offset:         16
        .size:           8
        .value_kind:     global_buffer
    .group_segment_fixed_size: 432
    .kernarg_segment_align: 8
    .kernarg_segment_size: 24
    .language:       OpenCL C
    .language_version:
      - 2
      - 0
    .max_flat_workgroup_size: 128
    .name:           _Z23fp32_router_gemm_kernelI14__hip_bfloat16Li128ELi27ELi256ELi3072EEvPfPKT_PKf
    .private_segment_fixed_size: 0
    .sgpr_count:     40
    .sgpr_spill_count: 0
    .symbol:         _Z23fp32_router_gemm_kernelI14__hip_bfloat16Li128ELi27ELi256ELi3072EEvPfPKT_PKf.kd
    .uniform_work_group_size: 1
    .uses_dynamic_stack: false
    .vgpr_count:     48
    .vgpr_spill_count: 0
    .wavefront_size: 64
  - .agpr_count:     0
    .args:
      - .address_space:  global
        .offset:         0
        .size:           8
        .value_kind:     global_buffer
      - .address_space:  global
        .offset:         8
        .size:           8
        .value_kind:     global_buffer
      - .address_space:  global
        .offset:         16
        .size:           8
        .value_kind:     global_buffer
    .group_segment_fixed_size: 448
    .kernarg_segment_align: 8
    .kernarg_segment_size: 24
    .language:       OpenCL C
    .language_version:
      - 2
      - 0
    .max_flat_workgroup_size: 128
    .name:           _Z23fp32_router_gemm_kernelI14__hip_bfloat16Li128ELi28ELi256ELi3072EEvPfPKT_PKf
    .private_segment_fixed_size: 0
    .sgpr_count:     41
    .sgpr_spill_count: 0
    .symbol:         _Z23fp32_router_gemm_kernelI14__hip_bfloat16Li128ELi28ELi256ELi3072EEvPfPKT_PKf.kd
    .uniform_work_group_size: 1
    .uses_dynamic_stack: false
    .vgpr_count:     50
    .vgpr_spill_count: 0
    .wavefront_size: 64
  - .agpr_count:     0
    .args:
      - .address_space:  global
        .offset:         0
        .size:           8
        .value_kind:     global_buffer
      - .address_space:  global
        .offset:         8
        .size:           8
        .value_kind:     global_buffer
      - .address_space:  global
        .offset:         16
        .size:           8
        .value_kind:     global_buffer
    .group_segment_fixed_size: 464
    .kernarg_segment_align: 8
    .kernarg_segment_size: 24
    .language:       OpenCL C
    .language_version:
      - 2
      - 0
    .max_flat_workgroup_size: 128
    .name:           _Z23fp32_router_gemm_kernelI14__hip_bfloat16Li128ELi29ELi256ELi3072EEvPfPKT_PKf
    .private_segment_fixed_size: 0
    .sgpr_count:     42
    .sgpr_spill_count: 0
    .symbol:         _Z23fp32_router_gemm_kernelI14__hip_bfloat16Li128ELi29ELi256ELi3072EEvPfPKT_PKf.kd
    .uniform_work_group_size: 1
    .uses_dynamic_stack: false
    .vgpr_count:     50
    .vgpr_spill_count: 0
    .wavefront_size: 64
  - .agpr_count:     0
    .args:
      - .address_space:  global
        .offset:         0
        .size:           8
        .value_kind:     global_buffer
      - .address_space:  global
        .offset:         8
        .size:           8
        .value_kind:     global_buffer
      - .address_space:  global
        .offset:         16
        .size:           8
        .value_kind:     global_buffer
    .group_segment_fixed_size: 480
    .kernarg_segment_align: 8
    .kernarg_segment_size: 24
    .language:       OpenCL C
    .language_version:
      - 2
      - 0
    .max_flat_workgroup_size: 128
    .name:           _Z23fp32_router_gemm_kernelI14__hip_bfloat16Li128ELi30ELi256ELi3072EEvPfPKT_PKf
    .private_segment_fixed_size: 0
    .sgpr_count:     43
    .sgpr_spill_count: 0
    .symbol:         _Z23fp32_router_gemm_kernelI14__hip_bfloat16Li128ELi30ELi256ELi3072EEvPfPKT_PKf.kd
    .uniform_work_group_size: 1
    .uses_dynamic_stack: false
    .vgpr_count:     52
    .vgpr_spill_count: 0
    .wavefront_size: 64
  - .agpr_count:     0
    .args:
      - .address_space:  global
        .offset:         0
        .size:           8
        .value_kind:     global_buffer
      - .address_space:  global
        .offset:         8
        .size:           8
        .value_kind:     global_buffer
      - .address_space:  global
        .offset:         16
        .size:           8
        .value_kind:     global_buffer
    .group_segment_fixed_size: 496
    .kernarg_segment_align: 8
    .kernarg_segment_size: 24
    .language:       OpenCL C
    .language_version:
      - 2
      - 0
    .max_flat_workgroup_size: 128
    .name:           _Z23fp32_router_gemm_kernelI14__hip_bfloat16Li128ELi31ELi256ELi3072EEvPfPKT_PKf
    .private_segment_fixed_size: 0
    .sgpr_count:     44
    .sgpr_spill_count: 0
    .symbol:         _Z23fp32_router_gemm_kernelI14__hip_bfloat16Li128ELi31ELi256ELi3072EEvPfPKT_PKf.kd
    .uniform_work_group_size: 1
    .uses_dynamic_stack: false
    .vgpr_count:     52
    .vgpr_spill_count: 0
    .wavefront_size: 64
  - .agpr_count:     0
    .args:
      - .address_space:  global
        .offset:         0
        .size:           8
        .value_kind:     global_buffer
      - .address_space:  global
        .offset:         8
        .size:           8
        .value_kind:     global_buffer
      - .address_space:  global
        .offset:         16
        .size:           8
        .value_kind:     global_buffer
    .group_segment_fixed_size: 512
    .kernarg_segment_align: 8
    .kernarg_segment_size: 24
    .language:       OpenCL C
    .language_version:
      - 2
      - 0
    .max_flat_workgroup_size: 128
    .name:           _Z23fp32_router_gemm_kernelI14__hip_bfloat16Li128ELi32ELi256ELi3072EEvPfPKT_PKf
    .private_segment_fixed_size: 0
    .sgpr_count:     45
    .sgpr_spill_count: 0
    .symbol:         _Z23fp32_router_gemm_kernelI14__hip_bfloat16Li128ELi32ELi256ELi3072EEvPfPKT_PKf.kd
    .uniform_work_group_size: 1
    .uses_dynamic_stack: false
    .vgpr_count:     54
    .vgpr_spill_count: 0
    .wavefront_size: 64
amdhsa.target:   amdgcn-amd-amdhsa--gfx90a
amdhsa.version:
  - 1
  - 2
...

	.end_amdgpu_metadata
